;; amdgpu-corpus repo=ROCm/rocFFT kind=compiled arch=gfx1030 opt=O3
	.text
	.amdgcn_target "amdgcn-amd-amdhsa--gfx1030"
	.amdhsa_code_object_version 6
	.protected	bluestein_single_back_len2025_dim1_sp_op_CI_CI ; -- Begin function bluestein_single_back_len2025_dim1_sp_op_CI_CI
	.globl	bluestein_single_back_len2025_dim1_sp_op_CI_CI
	.p2align	8
	.type	bluestein_single_back_len2025_dim1_sp_op_CI_CI,@function
bluestein_single_back_len2025_dim1_sp_op_CI_CI: ; @bluestein_single_back_len2025_dim1_sp_op_CI_CI
; %bb.0:
	s_load_dwordx4 s[12:15], s[4:5], 0x28
	v_mul_u32_u24_e32 v1, 0x1e6, v0
	v_mov_b32_e32 v143, 0
	s_mov_b32 s0, exec_lo
	v_lshrrev_b32_e32 v1, 16, v1
	v_add_nc_u32_e32 v142, s6, v1
	s_waitcnt lgkmcnt(0)
	v_cmpx_gt_u64_e64 s[12:13], v[142:143]
	s_cbranch_execz .LBB0_2
; %bb.1:
	s_clause 0x1
	s_load_dwordx4 s[8:11], s[4:5], 0x18
	s_load_dwordx4 s[0:3], s[4:5], 0x0
	v_mul_lo_u16 v1, 0x87, v1
	v_mov_b32_e32 v91, 3
	v_sub_nc_u16 v90, v0, v1
	v_and_b32_e32 v176, 0xffff, v90
	v_and_b32_e32 v68, 0xff, v90
	v_lshlrev_b32_e32 v175, 3, v176
	v_add_co_u32 v94, null, 0x10e, v176
	s_waitcnt lgkmcnt(0)
	s_load_dwordx4 s[16:19], s[8:9], 0x0
	s_clause 0x1
	global_load_dwordx2 v[114:115], v175, s[0:1]
	global_load_dwordx2 v[112:113], v175, s[0:1] offset:1080
	v_add_co_u32 v110, s6, s0, v175
	v_add_co_ci_u32_e64 v111, null, s1, 0, s6
	v_add_co_u32 v93, null, 0x195, v176
	v_add_co_u32 v0, vcc_lo, 0x1000, v110
	v_add_co_ci_u32_e32 v1, vcc_lo, 0, v111, vcc_lo
	v_add_co_u32 v2, vcc_lo, 0x2800, v110
	v_add_co_ci_u32_e32 v3, vcc_lo, 0, v111, vcc_lo
	v_add_co_u32 v4, vcc_lo, 0x1800, v110
	v_add_co_ci_u32_e32 v5, vcc_lo, 0, v111, vcc_lo
	s_waitcnt lgkmcnt(0)
	v_mad_u64_u32 v[6:7], null, s18, v142, 0
	v_add_co_u32 v8, vcc_lo, 0x800, v110
	v_mad_u64_u32 v[10:11], null, s16, v176, 0
	v_add_co_ci_u32_e32 v9, vcc_lo, 0, v111, vcc_lo
	v_add_co_u32 v12, vcc_lo, 0x3000, v110
	v_mad_u64_u32 v[14:15], null, s19, v142, v[7:8]
	s_clause 0x2
	global_load_dwordx2 v[116:117], v[0:1], off offset:1304
	global_load_dwordx2 v[122:123], v[2:3], off offset:560
	;; [unrolled: 1-line block ×3, first 2 shown]
	v_mad_u64_u32 v[2:3], null, s17, v176, v[11:12]
	v_add_co_ci_u32_e32 v13, vcc_lo, 0, v111, vcc_lo
	v_mov_b32_e32 v7, v14
	v_add_co_u32 v28, vcc_lo, 0x2000, v110
	v_add_co_ci_u32_e32 v29, vcc_lo, 0, v111, vcc_lo
	v_mov_b32_e32 v11, v2
	v_lshlrev_b64 v[2:3], 3, v[6:7]
	s_clause 0x3
	global_load_dwordx2 v[128:129], v[4:5], off offset:336
	global_load_dwordx2 v[126:127], v[4:5], off offset:1416
	;; [unrolled: 1-line block ×4, first 2 shown]
	s_mul_i32 s0, s17, 0x1518
	s_mul_hi_u32 s1, s16, 0x1518
	v_lshlrev_b64 v[4:5], 3, v[10:11]
	s_mul_i32 s6, s16, 0x1518
	v_add_co_u32 v2, vcc_lo, s14, v2
	v_add_co_ci_u32_e32 v3, vcc_lo, s15, v3, vcc_lo
	s_add_i32 s1, s1, s0
	v_add_co_u32 v2, vcc_lo, v2, v4
	v_add_co_ci_u32_e32 v3, vcc_lo, v3, v5, vcc_lo
	s_mul_hi_u32 s8, s16, 0xffffda08
	v_add_co_u32 v4, vcc_lo, v2, s6
	v_add_co_ci_u32_e32 v5, vcc_lo, s1, v3, vcc_lo
	s_mul_i32 s7, s17, 0xffffda08
	v_add_co_u32 v6, vcc_lo, v4, s6
	v_add_co_ci_u32_e32 v7, vcc_lo, s1, v5, vcc_lo
	s_mul_i32 s9, s16, 0xffffda08
	s_sub_i32 s0, s8, s16
	v_add_co_u32 v8, vcc_lo, v6, s9
	s_add_i32 s0, s0, s7
	global_load_dwordx2 v[130:131], v[28:29], off offset:448
	v_add_co_ci_u32_e32 v9, vcc_lo, s0, v7, vcc_lo
	v_add_co_u32 v10, vcc_lo, v8, s6
	s_clause 0x1
	global_load_dwordx2 v[134:135], v[12:13], off offset:672
	global_load_dwordx2 v[132:133], v[12:13], off offset:1752
	v_add_co_ci_u32_e32 v11, vcc_lo, s1, v9, vcc_lo
	s_clause 0x2
	global_load_dwordx2 v[20:21], v[2:3], off
	global_load_dwordx2 v[24:25], v[4:5], off
	;; [unrolled: 1-line block ×3, first 2 shown]
	v_add_co_u32 v2, vcc_lo, v10, s6
	v_add_co_ci_u32_e32 v3, vcc_lo, s1, v11, vcc_lo
	s_clause 0x1
	global_load_dwordx2 v[22:23], v[8:9], off
	global_load_dwordx2 v[12:13], v[10:11], off
	v_add_co_u32 v14, vcc_lo, v2, s9
	v_add_co_ci_u32_e32 v15, vcc_lo, s0, v3, vcc_lo
	global_load_dwordx2 v[4:5], v[2:3], off
	v_add_co_u32 v16, vcc_lo, v14, s6
	v_add_co_ci_u32_e32 v17, vcc_lo, s1, v15, vcc_lo
	;; [unrolled: 3-line block ×5, first 2 shown]
	v_add_co_u32 v92, null, 0x21c, v176
	v_add_co_u32 v26, vcc_lo, v10, s6
	v_add_co_ci_u32_e32 v27, vcc_lo, s1, v11, vcc_lo
	v_mul_u32_u24_e32 v34, 3, v93
	v_add_co_u32 v30, vcc_lo, v26, s9
	v_add_co_ci_u32_e32 v31, vcc_lo, s0, v27, vcc_lo
	global_load_dwordx2 v[136:137], v[0:1], off offset:224
	global_load_dwordx2 v[14:15], v[2:3], off
	global_load_dwordx2 v[2:3], v[10:11], off
	;; [unrolled: 1-line block ×4, first 2 shown]
	v_add_co_u32 v26, vcc_lo, v30, s6
	v_add_co_ci_u32_e32 v27, vcc_lo, s1, v31, vcc_lo
	v_add_co_u32 v108, vcc_lo, 0x3800, v110
	v_add_co_ci_u32_e32 v109, vcc_lo, 0, v111, vcc_lo
	;; [unrolled: 2-line block ×3, first 2 shown]
	global_load_dwordx2 v[26:27], v[26:27], off
	s_clause 0x1
	global_load_dwordx2 v[138:139], v[28:29], off offset:1528
	global_load_dwordx2 v[140:141], v[108:109], off offset:784
	global_load_dwordx2 v[28:29], v[30:31], off
	v_mul_lo_u16 v31, v90, 3
	v_mov_b32_e32 v30, 0xaaab
	v_add_co_u32 v95, s0, 0x87, v176
	v_mul_u32_u24_e32 v33, 3, v94
	v_lshlrev_b32_sdwa v177, v91, v31 dst_sel:DWORD dst_unused:UNUSED_PAD src0_sel:DWORD src1_sel:WORD_0
	v_mul_lo_u16 v31, 0xab, v68
	v_mul_u32_u24_sdwa v36, v94, v30 dst_sel:DWORD dst_unused:UNUSED_PAD src0_sel:WORD_0 src1_sel:DWORD
	v_mul_u32_u24_sdwa v37, v93, v30 dst_sel:DWORD dst_unused:UNUSED_PAD src0_sel:WORD_0 src1_sel:DWORD
	v_mul_u32_u24_e32 v32, 3, v95
	v_lshlrev_b32_e32 v196, 3, v34
	v_lshrrev_b16 v40, 9, v31
	v_mul_u32_u24_sdwa v31, v95, v30 dst_sel:DWORD dst_unused:UNUSED_PAD src0_sel:WORD_0 src1_sel:DWORD
	v_mul_u32_u24_sdwa v30, v92, v30 dst_sel:DWORD dst_unused:UNUSED_PAD src0_sel:WORD_0 src1_sel:DWORD
	v_lshlrev_b32_e32 v195, 3, v32
	v_lshlrev_b32_e32 v197, 3, v33
	v_mul_lo_u16 v32, v40, 3
	v_lshrrev_b32_e32 v41, 17, v31
	v_lshrrev_b32_e32 v44, 17, v30
	v_add_nc_u32_e32 v181, 0x1800, v175
	v_mul_u32_u24_e32 v35, 3, v92
	v_sub_nc_u16 v34, v90, v32
	v_add_nc_u32_e32 v185, 0x2c00, v175
	v_add_nc_u32_e32 v179, 0x800, v175
	;; [unrolled: 1-line block ×3, first 2 shown]
	v_lshlrev_b32_e32 v194, 3, v35
	v_mul_lo_u16 v35, v41, 3
	v_add_nc_u32_e32 v182, 0x2800, v175
	v_add_nc_u32_e32 v178, 0x2000, v175
	;; [unrolled: 1-line block ×3, first 2 shown]
	s_load_dwordx4 s[8:11], s[10:11], 0x0
	v_sub_nc_u16 v46, v95, v35
	v_add_nc_u32_e32 v180, 0x3000, v175
	v_lshrrev_b32_e32 v42, 17, v36
	v_lshrrev_b32_e32 v43, 17, v37
	v_mul_lo_u16 v38, v44, 3
	v_and_b32_e32 v45, 0xff, v34
	v_add_co_ci_u32_e64 v69, null, 0, 0, s0
	v_mul_lo_u16 v36, v42, 3
	v_mul_lo_u16 v37, v43, 3
	v_sub_nc_u16 v53, v92, v38
	v_cmp_gt_u16_e32 vcc_lo, 0x5a, v90
	v_sub_nc_u16 v47, v94, v36
	v_sub_nc_u16 v52, v93, v37
	s_waitcnt lgkmcnt(0)
	s_mul_hi_u32 s7, s8, 0x1518
	s_mul_hi_u32 s12, s8, 0xffffda08
	s_mul_i32 s6, s8, 0xffffda08
	s_waitcnt vmcnt(17)
	v_mul_f32_e32 v30, v21, v115
	v_mul_f32_e32 v31, v20, v115
	s_waitcnt vmcnt(16)
	v_mul_f32_e32 v32, v25, v117
	v_mul_f32_e32 v33, v24, v117
	v_fmac_f32_e32 v30, v20, v114
	v_fma_f32 v31, v21, v114, -v31
	s_waitcnt vmcnt(15)
	v_mul_f32_e32 v20, v19, v123
	v_mul_f32_e32 v21, v18, v123
	v_fmac_f32_e32 v32, v24, v116
	s_waitcnt vmcnt(14)
	v_mul_f32_e32 v24, v23, v113
	v_fma_f32 v33, v25, v116, -v33
	v_fmac_f32_e32 v20, v18, v122
	v_fma_f32 v21, v19, v122, -v21
	s_waitcnt vmcnt(13)
	v_mul_f32_e32 v18, v13, v129
	v_mul_f32_e32 v19, v12, v129
	;; [unrolled: 1-line block ×3, first 2 shown]
	v_fmac_f32_e32 v24, v22, v112
	ds_write_b64 v175, v[20:21] offset:10800
	s_waitcnt vmcnt(12)
	v_mul_f32_e32 v20, v5, v121
	v_fmac_f32_e32 v18, v12, v128
	v_fma_f32 v19, v13, v128, -v19
	v_mul_f32_e32 v13, v4, v121
	s_waitcnt vmcnt(10)
	v_mul_f32_e32 v12, v17, v127
	v_mul_f32_e32 v22, v16, v127
	v_fmac_f32_e32 v20, v4, v120
	v_mul_f32_e32 v4, v7, v125
	v_fma_f32 v25, v23, v112, -v25
	v_fma_f32 v21, v5, v120, -v13
	v_fmac_f32_e32 v12, v16, v126
	v_fma_f32 v13, v17, v126, -v22
	v_mul_f32_e32 v23, v6, v125
	v_fmac_f32_e32 v4, v6, v124
	s_waitcnt vmcnt(9)
	v_mul_f32_e32 v6, v9, v135
	ds_write_b64 v175, v[32:33] offset:5400
	ds_write2_b64 v175, v[30:31], v[24:25] offset1:135
	ds_write2_b64 v181, v[18:19], v[12:13] offset0:42 offset1:177
	v_fma_f32 v5, v7, v124, -v23
	v_mul_f32_e32 v7, v8, v135
	v_fmac_f32_e32 v6, v8, v134
	s_waitcnt vmcnt(7)
	v_mul_f32_e32 v12, v14, v119
	s_waitcnt vmcnt(6)
	v_mul_f32_e32 v8, v3, v131
	;; [unrolled: 2-line block ×3, first 2 shown]
	v_mul_f32_e32 v16, v15, v119
	v_fma_f32 v7, v9, v134, -v7
	v_fma_f32 v17, v15, v118, -v12
	v_mul_f32_e32 v12, v1, v133
	v_mul_f32_e32 v9, v2, v131
	v_fmac_f32_e32 v8, v2, v130
	s_waitcnt vmcnt(4)
	v_mul_f32_e32 v2, v11, v137
	v_fma_f32 v13, v1, v132, -v13
	v_mul_f32_e32 v1, v10, v137
	v_fmac_f32_e32 v16, v14, v118
	v_fmac_f32_e32 v12, v0, v132
	s_waitcnt vmcnt(2)
	v_mul_f32_e32 v0, v27, v139
	v_mul_f32_e32 v14, v26, v139
	v_fmac_f32_e32 v2, v10, v136
	s_waitcnt vmcnt(0)
	v_mul_f32_e32 v10, v29, v141
	v_mul_f32_e32 v15, v28, v141
	v_fma_f32 v9, v3, v130, -v9
	v_fma_f32 v3, v11, v136, -v1
	v_fmac_f32_e32 v0, v26, v138
	v_fma_f32 v1, v27, v138, -v14
	v_fmac_f32_e32 v10, v28, v140
	v_fma_f32 v11, v29, v140, -v15
	ds_write2_b64 v185, v[20:21], v[6:7] offset0:77 offset1:212
	ds_write2_b64 v179, v[4:5], v[16:17] offset0:14 offset1:149
	ds_write_b64 v175, v[2:3] offset:4320
	ds_write2_b64 v178, v[8:9], v[0:1] offset0:56 offset1:191
	ds_write2_b64 v184, v[12:13], v[10:11] offset0:91 offset1:226
	s_waitcnt lgkmcnt(0)
	s_barrier
	buffer_gl0_inv
	ds_read2_b64 v[0:3], v175 offset1:135
	ds_read2_b64 v[4:7], v183 offset0:28 offset1:163
	ds_read2_b64 v[8:11], v182 offset0:70 offset1:205
	v_lshlrev_b16 v24, 1, v46
	ds_read2_b64 v[12:15], v181 offset0:42 offset1:177
	ds_read2_b64 v[16:19], v179 offset0:14 offset1:149
	;; [unrolled: 1-line block ×3, first 2 shown]
	v_lshlrev_b16 v31, 1, v47
	v_lshlrev_b32_e32 v30, 4, v45
	v_lshlrev_b32_sdwa v33, v91, v24 dst_sel:DWORD dst_unused:UNUSED_PAD src0_sel:DWORD src1_sel:WORD_0
	ds_read2_b64 v[24:27], v178 offset0:56 offset1:191
	ds_read_b64 v[28:29], v175 offset:15120
	v_lshlrev_b16 v32, 1, v52
	s_waitcnt lgkmcnt(0)
	s_barrier
	buffer_gl0_inv
	v_add_f32_e32 v34, v0, v6
	v_add_f32_e32 v35, v6, v8
	;; [unrolled: 1-line block ×4, first 2 shown]
	v_sub_f32_e32 v50, v13, v11
	v_add_f32_e32 v51, v3, v13
	v_add_f32_e32 v13, v13, v11
	;; [unrolled: 1-line block ×4, first 2 shown]
	v_sub_f32_e32 v36, v7, v9
	v_add_f32_e32 v37, v1, v7
	v_sub_f32_e32 v39, v6, v8
	v_add_f32_e32 v48, v2, v12
	;; [unrolled: 2-line block ×4, first 2 shown]
	v_add_f32_e32 v15, v19, v25
	v_add_f32_e32 v60, v24, v22
	v_sub_f32_e32 v61, v25, v23
	v_add_f32_e32 v25, v25, v23
	v_add_f32_e32 v63, v26, v28
	v_sub_f32_e32 v64, v27, v29
	v_add_f32_e32 v65, v5, v27
	v_add_f32_e32 v27, v27, v29
	v_fma_f32 v0, -0.5, v35, v0
	v_fma_f32 v1, -0.5, v38, v1
	v_sub_f32_e32 v59, v14, v20
	v_add_f32_e32 v14, v18, v24
	v_fma_f32 v2, -0.5, v49, v2
	v_fmac_f32_e32 v3, -0.5, v13
	v_sub_f32_e32 v62, v24, v22
	v_add_f32_e32 v24, v4, v26
	v_fma_f32 v16, -0.5, v55, v16
	v_fma_f32 v17, -0.5, v58, v17
	v_sub_f32_e32 v66, v26, v28
	v_add_f32_e32 v6, v34, v8
	v_add_f32_e32 v7, v37, v9
	v_add_f32_e32 v8, v48, v10
	v_add_f32_e32 v9, v51, v11
	v_add_f32_e32 v10, v12, v20
	v_add_f32_e32 v11, v57, v21
	v_fma_f32 v18, -0.5, v60, v18
	v_fmac_f32_e32 v19, -0.5, v25
	v_fma_f32 v4, -0.5, v63, v4
	v_fmac_f32_e32 v5, -0.5, v27
	v_fmamk_f32 v20, v36, 0x3f5db3d7, v0
	v_fmamk_f32 v21, v39, 0xbf5db3d7, v1
	v_fmac_f32_e32 v0, 0xbf5db3d7, v36
	v_fmac_f32_e32 v1, 0x3f5db3d7, v39
	v_add_f32_e32 v12, v14, v22
	v_add_f32_e32 v13, v15, v23
	v_fmamk_f32 v22, v50, 0x3f5db3d7, v2
	v_fmamk_f32 v23, v54, 0xbf5db3d7, v3
	v_fmac_f32_e32 v2, 0xbf5db3d7, v50
	v_fmac_f32_e32 v3, 0x3f5db3d7, v54
	v_add_f32_e32 v14, v24, v28
	v_fmamk_f32 v24, v56, 0x3f5db3d7, v16
	v_fmamk_f32 v25, v59, 0xbf5db3d7, v17
	v_add_f32_e32 v15, v65, v29
	v_fmac_f32_e32 v16, 0xbf5db3d7, v56
	v_fmac_f32_e32 v17, 0x3f5db3d7, v59
	v_fmamk_f32 v26, v61, 0x3f5db3d7, v18
	v_fmac_f32_e32 v18, 0xbf5db3d7, v61
	v_fmamk_f32 v27, v62, 0xbf5db3d7, v19
	;; [unrolled: 2-line block ×4, first 2 shown]
	v_fmac_f32_e32 v5, 0x3f5db3d7, v66
	ds_write2_b64 v177, v[6:7], v[20:21] offset1:1
	ds_write_b64 v177, v[0:1] offset:16
	ds_write2_b64 v195, v[8:9], v[22:23] offset1:1
	ds_write_b64 v195, v[2:3] offset:16
	;; [unrolled: 2-line block ×5, first 2 shown]
	v_lshlrev_b32_sdwa v0, v91, v31 dst_sel:DWORD dst_unused:UNUSED_PAD src0_sel:DWORD src1_sel:WORD_0
	v_lshlrev_b16 v1, 1, v53
	s_waitcnt lgkmcnt(0)
	s_barrier
	buffer_gl0_inv
	s_clause 0x2
	global_load_dwordx4 v[20:23], v30, s[2:3]
	global_load_dwordx4 v[36:39], v0, s[2:3]
	;; [unrolled: 1-line block ×3, first 2 shown]
	v_lshlrev_b32_sdwa v2, v91, v32 dst_sel:DWORD dst_unused:UNUSED_PAD src0_sel:DWORD src1_sel:WORD_0
	v_lshlrev_b32_sdwa v0, v91, v1 dst_sel:DWORD dst_unused:UNUSED_PAD src0_sel:DWORD src1_sel:WORD_0
	s_clause 0x1
	global_load_dwordx4 v[48:51], v2, s[2:3]
	global_load_dwordx4 v[32:35], v0, s[2:3]
	v_mov_b32_e32 v0, 0xe38f
	v_mul_lo_u16 v1, v68, 57
	v_mad_u16 v4, v41, 9, v46
	v_mad_u16 v5, v42, 9, v47
	;; [unrolled: 1-line block ×3, first 2 shown]
	v_mul_u32_u24_sdwa v2, v95, v0 dst_sel:DWORD dst_unused:UNUSED_PAD src0_sel:WORD_0 src1_sel:DWORD
	v_lshrrev_b16 v72, 9, v1
	v_mul_u32_u24_sdwa v0, v94, v0 dst_sel:DWORD dst_unused:UNUSED_PAD src0_sel:WORD_0 src1_sel:DWORD
	v_mad_u16 v9, v44, 9, v53
	v_lshlrev_b32_sdwa v192, v91, v4 dst_sel:DWORD dst_unused:UNUSED_PAD src0_sel:DWORD src1_sel:WORD_0
	v_lshrrev_b32_e32 v75, 19, v2
	v_mul_lo_u16 v1, v72, 9
	v_lshrrev_b32_e32 v76, 19, v0
	v_mov_b32_e32 v0, 9
	v_lshlrev_b32_sdwa v190, v91, v5 dst_sel:DWORD dst_unused:UNUSED_PAD src0_sel:DWORD src1_sel:WORD_0
	v_mul_lo_u16 v2, v75, 9
	v_sub_nc_u16 v1, v90, v1
	v_mul_lo_u16 v3, v76, 9
	v_mul_u32_u24_sdwa v0, v40, v0 dst_sel:DWORD dst_unused:UNUSED_PAD src0_sel:WORD_0 src1_sel:DWORD
	v_lshlrev_b32_sdwa v193, v91, v8 dst_sel:DWORD dst_unused:UNUSED_PAD src0_sel:DWORD src1_sel:WORD_0
	v_sub_nc_u16 v77, v95, v2
	v_and_b32_e32 v78, 0xff, v1
	v_sub_nc_u16 v79, v94, v3
	v_add_lshl_u32 v189, v0, v45, 3
	ds_read2_b64 v[0:3], v182 offset0:70 offset1:205
	v_lshlrev_b16 v6, 5, v77
	v_lshlrev_b32_sdwa v191, v91, v9 dst_sel:DWORD dst_unused:UNUSED_PAD src0_sel:DWORD src1_sel:WORD_0
	ds_read2_b64 v[8:11], v180 offset0:84 offset1:219
	v_lshlrev_b16 v53, 5, v79
	v_lshlrev_b32_e32 v52, 5, v78
	v_and_b32_e32 v12, 0xffff, v6
	ds_read2_b64 v[4:7], v181 offset0:42 offset1:177
	v_add_co_u32 v56, s0, s2, v12
	ds_read2_b64 v[12:15], v178 offset0:56 offset1:191
	ds_read2_b64 v[16:19], v183 offset0:28 offset1:163
	ds_read2_b64 v[24:27], v175 offset1:135
	ds_read_b64 v[44:45], v175 offset:15120
	ds_read2_b64 v[40:43], v179 offset0:14 offset1:149
	s_waitcnt vmcnt(0) lgkmcnt(0)
	s_barrier
	buffer_gl0_inv
	v_add_co_ci_u32_e64 v57, null, s3, 0, s0
	v_mul_f32_e32 v46, v1, v23
	v_mul_f32_e32 v47, v0, v23
	;; [unrolled: 1-line block ×20, first 2 shown]
	v_fma_f32 v0, v0, v22, -v46
	v_fmac_f32_e32 v47, v1, v22
	v_fmac_f32_e32 v59, v5, v28
	v_fmac_f32_e32 v74, v19, v20
	v_fma_f32 v5, v18, v20, -v73
	v_fma_f32 v46, v2, v30, -v54
	v_fmac_f32_e32 v55, v3, v30
	v_fma_f32 v1, v4, v28, -v58
	v_fma_f32 v2, v6, v36, -v60
	v_fmac_f32_e32 v61, v7, v36
	v_fma_f32 v6, v8, v38, -v62
	v_fmac_f32_e32 v63, v9, v38
	;; [unrolled: 2-line block ×6, first 2 shown]
	v_add_f32_e32 v8, v74, v47
	v_add_f32_e32 v11, v5, v0
	;; [unrolled: 1-line block ×5, first 2 shown]
	v_sub_f32_e32 v19, v5, v0
	v_add_f32_e32 v5, v27, v59
	v_sub_f32_e32 v44, v59, v55
	v_add_f32_e32 v54, v41, v61
	;; [unrolled: 2-line block ×3, first 2 shown]
	v_add_f32_e32 v61, v2, v6
	v_add_f32_e32 v7, v25, v74
	v_sub_f32_e32 v18, v74, v47
	v_add_f32_e32 v14, v26, v1
	v_add_f32_e32 v60, v40, v2
	v_sub_f32_e32 v62, v2, v6
	v_add_f32_e32 v64, v43, v67
	v_sub_f32_e32 v66, v67, v65
	v_add_f32_e32 v67, v67, v65
	v_add_f32_e32 v70, v42, v3
	;; [unrolled: 1-line block ×3, first 2 shown]
	v_sub_f32_e32 v74, v3, v10
	v_add_f32_e32 v80, v17, v71
	v_sub_f32_e32 v82, v71, v81
	v_add_f32_e32 v71, v71, v81
	v_add_f32_e32 v84, v4, v12
	v_fma_f32 v2, -0.5, v11, v24
	v_fma_f32 v3, -0.5, v8, v25
	v_sub_f32_e32 v45, v1, v46
	v_fma_f32 v26, -0.5, v15, v26
	v_fmac_f32_e32 v27, -0.5, v13
	v_add_f32_e32 v0, v9, v0
	v_fma_f32 v8, -0.5, v61, v40
	v_fma_f32 v9, -0.5, v59, v41
	v_add_f32_e32 v83, v16, v4
	v_sub_f32_e32 v85, v4, v12
	v_add_f32_e32 v1, v7, v47
	v_add_f32_e32 v4, v14, v46
	v_fma_f32 v42, -0.5, v73, v42
	v_fmac_f32_e32 v43, -0.5, v67
	v_fma_f32 v16, -0.5, v84, v16
	v_fmac_f32_e32 v17, -0.5, v71
	v_fmamk_f32 v14, v18, 0x3f5db3d7, v2
	v_fmamk_f32 v15, v19, 0xbf5db3d7, v3
	v_fmac_f32_e32 v2, 0xbf5db3d7, v18
	v_fmac_f32_e32 v3, 0x3f5db3d7, v19
	v_add_f32_e32 v5, v5, v55
	v_fmamk_f32 v18, v44, 0x3f5db3d7, v26
	v_fmamk_f32 v19, v45, 0xbf5db3d7, v27
	v_fmac_f32_e32 v26, 0xbf5db3d7, v44
	v_fmac_f32_e32 v27, 0x3f5db3d7, v45
	v_add_f32_e32 v7, v54, v63
	v_add_f32_e32 v6, v60, v6
	v_fmamk_f32 v24, v58, 0x3f5db3d7, v8
	v_fmamk_f32 v25, v62, 0xbf5db3d7, v9
	v_add_f32_e32 v11, v64, v65
	v_add_f32_e32 v10, v70, v10
	;; [unrolled: 1-line block ×4, first 2 shown]
	v_fmac_f32_e32 v8, 0xbf5db3d7, v58
	v_fmac_f32_e32 v9, 0x3f5db3d7, v62
	v_fmamk_f32 v40, v66, 0x3f5db3d7, v42
	v_fmamk_f32 v41, v74, 0xbf5db3d7, v43
	v_fmac_f32_e32 v42, 0xbf5db3d7, v66
	v_fmac_f32_e32 v43, 0x3f5db3d7, v74
	v_fmamk_f32 v44, v82, 0x3f5db3d7, v16
	v_fmamk_f32 v45, v85, 0xbf5db3d7, v17
	v_fmac_f32_e32 v16, 0xbf5db3d7, v82
	v_fmac_f32_e32 v17, 0x3f5db3d7, v85
	ds_write2_b64 v189, v[0:1], v[14:15] offset1:3
	ds_write_b64 v189, v[2:3] offset:48
	ds_write2_b64 v192, v[4:5], v[18:19] offset1:3
	ds_write_b64 v192, v[26:27] offset:48
	;; [unrolled: 2-line block ×5, first 2 shown]
	v_and_b32_e32 v0, 0xffff, v53
	s_waitcnt lgkmcnt(0)
	s_barrier
	buffer_gl0_inv
	s_clause 0x1
	global_load_dwordx4 v[40:43], v52, s[2:3] offset:48
	global_load_dwordx4 v[44:47], v[56:57], off offset:48
	v_add_co_u32 v0, s0, s2, v0
	v_add_co_ci_u32_e64 v1, null, s3, 0, s0
	s_clause 0x3
	global_load_dwordx4 v[52:55], v52, s[2:3] offset:64
	global_load_dwordx4 v[60:63], v[56:57], off offset:64
	global_load_dwordx4 v[56:59], v[0:1], off offset:48
	;; [unrolled: 1-line block ×3, first 2 shown]
	v_mul_lo_u16 v0, 0x6d, v68
	v_mov_b32_e32 v2, 0x2d83
	v_mad_u16 v4, v75, 45, v77
	v_mad_u16 v6, v76, 45, v79
	v_lshrrev_b16 v0, 8, v0
	v_mul_u32_u24_sdwa v3, v95, v2 dst_sel:DWORD dst_unused:UNUSED_PAD src0_sel:WORD_0 src1_sel:DWORD
	v_mul_u32_u24_sdwa v2, v94, v2 dst_sel:DWORD dst_unused:UNUSED_PAD src0_sel:WORD_0 src1_sel:DWORD
	v_lshlrev_b32_sdwa v188, v91, v4 dst_sel:DWORD dst_unused:UNUSED_PAD src0_sel:DWORD src1_sel:WORD_0
	v_lshlrev_b32_sdwa v187, v91, v6 dst_sel:DWORD dst_unused:UNUSED_PAD src0_sel:DWORD src1_sel:WORD_0
	v_sub_nc_u16 v1, v90, v0
	v_lshrrev_b32_e32 v71, 19, v3
	v_lshrrev_b32_e32 v70, 19, v2
	v_lshrrev_b16 v1, 1, v1
	v_mul_lo_u16 v2, v71, 45
	v_mul_lo_u16 v3, v70, 45
	v_and_b32_e32 v1, 0x7f, v1
	v_sub_nc_u16 v74, v95, v2
	v_sub_nc_u16 v73, v94, v3
	v_lshlrev_b32_e32 v94, 4, v94
	v_add_nc_u16 v0, v1, v0
	v_mov_b32_e32 v1, 45
	v_lshlrev_b16 v5, 5, v74
	v_lshlrev_b16 v83, 5, v73
	v_mad_u16 v70, 0xe1, v70, v73
	v_lshrrev_b16 v68, 5, v0
	v_mul_u32_u24_sdwa v0, v72, v1 dst_sel:DWORD dst_unused:UNUSED_PAD src0_sel:WORD_0 src1_sel:DWORD
	v_and_b32_e32 v16, 0xffff, v5
	ds_read2_b64 v[4:7], v180 offset0:84 offset1:219
	v_mul_lo_u16 v1, v68, 45
	v_add_lshl_u32 v186, v0, v78, 3
	v_add_co_u32 v79, s0, s2, v16
	v_add_co_ci_u32_e64 v80, null, s3, 0, s0
	v_sub_nc_u16 v8, v90, v1
	ds_read2_b64 v[0:3], v181 offset0:42 offset1:177
	v_and_b32_e32 v72, 0xff, v8
	ds_read2_b64 v[8:11], v179 offset0:14 offset1:149
	ds_read2_b64 v[12:15], v178 offset0:56 offset1:191
	;; [unrolled: 1-line block ×4, first 2 shown]
	ds_read2_b64 v[75:78], v175 offset1:135
	ds_read_b64 v[81:82], v175 offset:15120
	s_waitcnt vmcnt(0) lgkmcnt(0)
	s_barrier
	buffer_gl0_inv
	v_lshlrev_b32_e32 v84, 5, v72
	v_mul_f32_e32 v85, v1, v43
	v_mul_f32_e32 v86, v0, v43
	v_mul_f32_e32 v99, v11, v41
	v_mul_f32_e32 v102, v10, v41
	v_mul_f32_e32 v87, v3, v47
	v_mul_f32_e32 v96, v4, v55
	v_mul_f32_e32 v100, v15, v53
	v_mul_f32_e32 v101, v14, v53
	v_mul_f32_e32 v89, v5, v55
	v_mul_f32_e32 v88, v2, v47
	v_mul_f32_e32 v97, v7, v63
	v_mul_f32_e32 v98, v6, v63
	v_mul_f32_e32 v103, v17, v61
	v_mul_f32_e32 v104, v25, v45
	v_mul_f32_e32 v105, v16, v61
	v_mul_f32_e32 v106, v24, v45
	v_mul_f32_e32 v107, v27, v57
	v_mul_f32_e32 v143, v26, v57
	v_mul_f32_e32 v144, v13, v59
	v_mul_f32_e32 v145, v12, v59
	v_mul_f32_e32 v146, v19, v65
	v_mul_f32_e32 v147, v18, v65
	v_mul_f32_e32 v148, v82, v67
	v_mul_f32_e32 v149, v81, v67
	v_fma_f32 v85, v0, v42, -v85
	v_fmac_f32_e32 v86, v1, v42
	v_fmac_f32_e32 v96, v5, v54
	v_fma_f32 v0, v10, v40, -v99
	v_fma_f32 v10, v14, v52, -v100
	v_fmac_f32_e32 v101, v15, v52
	v_fmac_f32_e32 v102, v11, v40
	v_fma_f32 v89, v4, v54, -v89
	v_fma_f32 v87, v2, v46, -v87
	v_fmac_f32_e32 v88, v3, v46
	v_fma_f32 v97, v6, v62, -v97
	v_fmac_f32_e32 v98, v7, v62
	v_fma_f32 v16, v16, v60, -v103
	v_fma_f32 v1, v24, v44, -v104
	v_fmac_f32_e32 v105, v17, v60
	v_fmac_f32_e32 v106, v25, v44
	v_fma_f32 v2, v26, v56, -v107
	v_fmac_f32_e32 v143, v27, v56
	v_fma_f32 v11, v12, v58, -v144
	;; [unrolled: 2-line block ×4, first 2 shown]
	v_fmac_f32_e32 v149, v82, v66
	v_add_f32_e32 v5, v85, v10
	v_add_f32_e32 v6, v86, v101
	v_sub_f32_e32 v7, v102, v86
	v_sub_f32_e32 v12, v96, v101
	v_add_f32_e32 v13, v75, v0
	v_sub_f32_e32 v3, v0, v85
	v_sub_f32_e32 v4, v89, v10
	v_add_f32_e32 v14, v76, v102
	v_add_f32_e32 v19, v0, v89
	;; [unrolled: 1-line block ×3, first 2 shown]
	v_sub_f32_e32 v82, v102, v96
	v_sub_f32_e32 v24, v86, v102
	v_add_f32_e32 v27, v87, v16
	v_add_f32_e32 v102, v1, v97
	;; [unrolled: 1-line block ×4, first 2 shown]
	v_sub_f32_e32 v15, v85, v0
	v_sub_f32_e32 v17, v10, v89
	v_add_f32_e32 v104, v77, v1
	v_sub_f32_e32 v99, v0, v89
	v_sub_f32_e32 v26, v101, v96
	;; [unrolled: 1-line block ×3, first 2 shown]
	v_add_f32_e32 v150, v78, v106
	v_sub_f32_e32 v156, v1, v97
	v_sub_f32_e32 v157, v1, v87
	v_add_f32_e32 v160, v11, v18
	v_add_f32_e32 v161, v2, v81
	;; [unrolled: 1-line block ×6, first 2 shown]
	v_fma_f32 v0, -0.5, v5, v75
	v_fma_f32 v1, -0.5, v6, v76
	v_add_f32_e32 v201, v7, v12
	v_add_f32_e32 v12, v13, v85
	v_sub_f32_e32 v100, v86, v101
	v_sub_f32_e32 v103, v85, v10
	;; [unrolled: 1-line block ×5, first 2 shown]
	v_add_f32_e32 v200, v3, v4
	v_add_f32_e32 v13, v14, v86
	v_fma_f32 v2, -0.5, v19, v75
	v_fma_f32 v3, -0.5, v25, v76
	v_sub_f32_e32 v153, v88, v105
	v_sub_f32_e32 v155, v87, v16
	v_fma_f32 v4, -0.5, v27, v77
	v_fma_f32 v77, -0.5, v102, v77
	;; [unrolled: 1-line block ×3, first 2 shown]
	v_fmac_f32_e32 v78, -0.5, v148
	v_sub_f32_e32 v154, v106, v98
	v_add_f32_e32 v85, v15, v17
	v_add_f32_e32 v17, v104, v87
	v_sub_f32_e32 v170, v145, v147
	v_sub_f32_e32 v171, v143, v149
	v_sub_f32_e32 v172, v11, v18
	v_add_f32_e32 v86, v24, v26
	v_add_f32_e32 v19, v150, v88
	v_fma_f32 v6, -0.5, v160, v8
	v_fma_f32 v8, -0.5, v161, v8
	;; [unrolled: 1-line block ×3, first 2 shown]
	v_fmac_f32_e32 v9, -0.5, v166
	v_add_f32_e32 v24, v162, v11
	v_add_f32_e32 v25, v167, v145
	;; [unrolled: 1-line block ×3, first 2 shown]
	v_fmamk_f32 v10, v82, 0x3f737871, v0
	v_fmamk_f32 v11, v99, 0xbf737871, v1
	v_add_f32_e32 v27, v13, v101
	v_fmamk_f32 v12, v100, 0xbf737871, v2
	v_fmac_f32_e32 v2, 0x3f737871, v100
	v_fmamk_f32 v13, v103, 0x3f737871, v3
	v_fmac_f32_e32 v3, 0xbf737871, v103
	v_fmac_f32_e32 v0, 0xbf737871, v82
	;; [unrolled: 1-line block ×3, first 2 shown]
	v_sub_f32_e32 v144, v16, v97
	v_sub_f32_e32 v151, v88, v106
	;; [unrolled: 1-line block ×3, first 2 shown]
	v_fmamk_f32 v14, v153, 0xbf737871, v77
	v_fmac_f32_e32 v77, 0x3f737871, v153
	v_fmamk_f32 v15, v155, 0x3f737871, v78
	v_fmac_f32_e32 v78, 0xbf737871, v155
	v_sub_f32_e32 v106, v106, v88
	v_sub_f32_e32 v158, v97, v16
	;; [unrolled: 1-line block ×3, first 2 shown]
	v_add_f32_e32 v75, v17, v16
	v_fmamk_f32 v16, v154, 0x3f737871, v4
	v_fmamk_f32 v17, v156, 0xbf737871, v5
	v_sub_f32_e32 v164, v18, v81
	v_sub_f32_e32 v168, v145, v143
	;; [unrolled: 1-line block ×6, first 2 shown]
	v_add_f32_e32 v76, v19, v105
	v_fmac_f32_e32 v4, 0xbf737871, v154
	v_fmac_f32_e32 v5, 0x3f737871, v156
	v_add_f32_e32 v101, v24, v18
	v_fmamk_f32 v18, v170, 0xbf737871, v8
	v_fmac_f32_e32 v8, 0x3f737871, v170
	v_fmamk_f32 v19, v172, 0x3f737871, v9
	v_fmac_f32_e32 v9, 0xbf737871, v172
	v_add_f32_e32 v105, v25, v147
	v_fmamk_f32 v24, v171, 0x3f737871, v6
	v_fmamk_f32 v25, v173, 0xbf737871, v7
	v_fmac_f32_e32 v6, 0xbf737871, v171
	v_fmac_f32_e32 v7, 0x3f737871, v173
	;; [unrolled: 1-line block ×10, first 2 shown]
	v_add_f32_e32 v102, v107, v144
	v_add_f32_e32 v107, v151, v152
	v_fmac_f32_e32 v14, 0x3f167918, v154
	v_fmac_f32_e32 v77, 0xbf167918, v154
	;; [unrolled: 1-line block ×4, first 2 shown]
	v_add_f32_e32 v87, v157, v158
	v_add_f32_e32 v88, v106, v159
	v_fmac_f32_e32 v16, 0x3f167918, v153
	v_fmac_f32_e32 v17, 0xbf167918, v155
	v_add_f32_e32 v104, v163, v164
	v_add_f32_e32 v106, v168, v169
	;; [unrolled: 1-line block ×6, first 2 shown]
	v_fmac_f32_e32 v4, 0xbf167918, v153
	v_fmac_f32_e32 v5, 0x3f167918, v155
	;; [unrolled: 1-line block ×22, first 2 shown]
	v_add_f32_e32 v75, v75, v97
	v_add_f32_e32 v76, v76, v98
	v_fmac_f32_e32 v16, 0x3e9e377a, v87
	v_fmac_f32_e32 v17, 0x3e9e377a, v88
	v_add_f32_e32 v81, v101, v81
	v_add_f32_e32 v82, v105, v149
	v_fmac_f32_e32 v4, 0x3e9e377a, v87
	v_fmac_f32_e32 v5, 0x3e9e377a, v88
	;; [unrolled: 1-line block ×10, first 2 shown]
	ds_write2_b64 v186, v[26:27], v[10:11] offset1:9
	ds_write2_b64 v186, v[12:13], v[2:3] offset0:18 offset1:27
	ds_write_b64 v186, v[0:1] offset:288
	ds_write2_b64 v188, v[14:15], v[77:78] offset0:18 offset1:27
	ds_write2_b64 v188, v[75:76], v[16:17] offset1:9
	ds_write_b64 v188, v[4:5] offset:288
	ds_write2_b64 v187, v[18:19], v[8:9] offset0:18 offset1:27
	ds_write2_b64 v187, v[81:82], v[24:25] offset1:9
	ds_write_b64 v187, v[6:7] offset:288
	v_and_b32_e32 v12, 0xffff, v83
	s_waitcnt lgkmcnt(0)
	s_barrier
	buffer_gl0_inv
	s_clause 0x1
	global_load_dwordx4 v[0:3], v84, s[2:3] offset:336
	global_load_dwordx4 v[4:7], v[79:80], off offset:336
	v_add_co_u32 v24, s0, s2, v12
	v_add_co_ci_u32_e64 v25, null, s3, 0, s0
	s_clause 0x3
	global_load_dwordx4 v[8:11], v84, s[2:3] offset:352
	global_load_dwordx4 v[16:19], v[79:80], off offset:352
	global_load_dwordx4 v[12:15], v[24:25], off offset:336
	;; [unrolled: 1-line block ×3, first 2 shown]
	v_add_co_u32 v75, s0, 0xffffffa6, v176
	v_add_co_ci_u32_e64 v76, null, 0, -1, s0
	v_mov_b32_e32 v77, 0x91a3
	v_cndmask_b32_e32 v88, v75, v95, vcc_lo
	v_lshlrev_b32_e32 v149, 4, v176
	v_cndmask_b32_e32 v89, v76, v69, vcc_lo
	v_mov_b32_e32 v82, 0xe1
	v_mul_u32_u24_sdwa v69, v93, v77 dst_sel:DWORD dst_unused:UNUSED_PAD src0_sel:WORD_0 src1_sel:DWORD
	v_mul_u32_u24_sdwa v77, v92, v77 dst_sel:DWORD dst_unused:UNUSED_PAD src0_sel:WORD_0 src1_sel:DWORD
	v_add_co_u32 v96, s0, s2, v149
	v_lshlrev_b64 v[75:76], 4, v[88:89]
	v_lshrrev_b32_e32 v89, 23, v69
	v_lshrrev_b32_e32 v69, 23, v77
	v_add_co_ci_u32_e64 v97, null, s3, 0, s0
	v_add_co_u32 v86, vcc_lo, 0x800, v96
	v_mul_lo_u16 v69, 0xe1, v69
	v_mul_lo_u16 v77, 0xe1, v89
	v_add_co_ci_u32_e32 v87, vcc_lo, 0, v97, vcc_lo
	v_add_co_u32 v147, vcc_lo, s2, v75
	v_sub_nc_u16 v99, v92, v69
	v_sub_nc_u16 v98, v93, v77
	v_mad_u16 v69, 0xe1, v71, v74
	v_add_co_ci_u32_e32 v148, vcc_lo, s3, v76, vcc_lo
	v_lshlrev_b16 v100, 4, v99
	ds_read2_b64 v[74:77], v181 offset0:42 offset1:177
	v_lshlrev_b16 v73, 4, v98
	ds_read2_b64 v[78:81], v180 offset0:84 offset1:219
	v_lshlrev_b32_sdwa v199, v91, v69 dst_sel:DWORD dst_unused:UNUSED_PAD src0_sel:DWORD src1_sel:WORD_0
	v_lshlrev_b32_sdwa v198, v91, v70 dst_sel:DWORD dst_unused:UNUSED_PAD src0_sel:DWORD src1_sel:WORD_0
	v_mul_u32_u24_sdwa v143, v68, v82 dst_sel:DWORD dst_unused:UNUSED_PAD src0_sel:WORD_0 src1_sel:DWORD
	ds_read2_b64 v[68:71], v179 offset0:14 offset1:149
	ds_read2_b64 v[82:85], v178 offset0:56 offset1:191
	v_and_b32_e32 v151, 0xffff, v100
	ds_read2_b64 v[100:103], v182 offset0:70 offset1:205
	ds_read2_b64 v[104:107], v183 offset0:28 offset1:163
	v_and_b32_e32 v150, 0xffff, v73
	v_add_lshl_u32 v200, v143, v72, 3
	ds_read2_b64 v[143:146], v175 offset1:135
	ds_read_b64 v[72:73], v175 offset:15120
	s_waitcnt vmcnt(0) lgkmcnt(0)
	s_barrier
	buffer_gl0_inv
	v_cmp_lt_u16_e32 vcc_lo, 0x59, v90
	v_lshlrev_b32_e32 v95, 4, v95
	v_lshlrev_b32_e32 v93, 4, v93
	v_cndmask_b32_e64 v90, 0, 0x2a3, vcc_lo
	v_mul_f32_e32 v152, v75, v3
	v_mul_f32_e32 v153, v74, v3
	;; [unrolled: 1-line block ×24, first 2 shown]
	v_fma_f32 v74, v74, v2, -v152
	v_fmac_f32_e32 v153, v75, v2
	v_fma_f32 v75, v76, v6, -v154
	v_fma_f32 v154, v80, v18, -v158
	v_fma_f32 v80, v84, v8, -v161
	v_fmac_f32_e32 v162, v85, v8
	v_fma_f32 v152, v78, v10, -v156
	v_fmac_f32_e32 v157, v79, v10
	v_fma_f32 v70, v70, v0, -v160
	;; [unrolled: 2-line block ×3, first 2 shown]
	v_fmac_f32_e32 v155, v77, v6
	v_fmac_f32_e32 v159, v81, v18
	v_fma_f32 v81, v100, v16, -v164
	v_fmac_f32_e32 v166, v101, v16
	v_fmac_f32_e32 v167, v105, v4
	v_fma_f32 v76, v106, v12, -v168
	v_fmac_f32_e32 v169, v107, v12
	v_fma_f32 v77, v82, v14, -v170
	;; [unrolled: 2-line block ×4, first 2 shown]
	v_fmac_f32_e32 v201, v73, v26
	v_add_f32_e32 v78, v74, v80
	v_add_f32_e32 v79, v153, v162
	v_sub_f32_e32 v72, v70, v74
	v_sub_f32_e32 v73, v152, v80
	;; [unrolled: 1-line block ×4, first 2 shown]
	v_add_f32_e32 v85, v143, v70
	v_add_f32_e32 v103, v70, v152
	;; [unrolled: 1-line block ×10, first 2 shown]
	v_sub_f32_e32 v158, v163, v157
	v_sub_f32_e32 v160, v70, v152
	;; [unrolled: 1-line block ×3, first 2 shown]
	v_add_f32_e32 v106, v146, v167
	v_sub_f32_e32 v168, v75, v71
	v_sub_f32_e32 v172, v71, v75
	;; [unrolled: 1-line block ×3, first 2 shown]
	v_add_f32_e32 v214, v77, v82
	v_add_f32_e32 v218, v76, v156
	;; [unrolled: 1-line block ×4, first 2 shown]
	v_fma_f32 v70, -0.5, v78, v143
	v_fma_f32 v71, -0.5, v79, v144
	v_sub_f32_e32 v161, v153, v162
	v_sub_f32_e32 v164, v74, v80
	;; [unrolled: 1-line block ×4, first 2 shown]
	v_add_f32_e32 v229, v72, v73
	v_add_f32_e32 v230, v83, v84
	;; [unrolled: 1-line block ×4, first 2 shown]
	v_fma_f32 v72, -0.5, v103, v143
	v_fma_f32 v73, -0.5, v107, v144
	v_sub_f32_e32 v170, v75, v81
	v_sub_f32_e32 v207, v155, v166
	v_add_f32_e32 v84, v100, v153
	v_add_f32_e32 v105, v212, v77
	v_fma_f32 v74, -0.5, v165, v145
	v_fma_f32 v145, -0.5, v174, v145
	;; [unrolled: 1-line block ×3, first 2 shown]
	v_fmac_f32_e32 v146, -0.5, v209
	v_sub_f32_e32 v206, v155, v167
	v_sub_f32_e32 v208, v167, v155
	;; [unrolled: 1-line block ×4, first 2 shown]
	v_add_f32_e32 v213, v69, v169
	v_sub_f32_e32 v215, v77, v76
	v_sub_f32_e32 v216, v77, v82
	;; [unrolled: 1-line block ×8, first 2 shown]
	v_add_f32_e32 v100, v106, v155
	v_fma_f32 v76, -0.5, v214, v68
	v_fma_f32 v68, -0.5, v218, v68
	;; [unrolled: 1-line block ×3, first 2 shown]
	v_fmac_f32_e32 v69, -0.5, v226
	v_fmamk_f32 v78, v158, 0x3f737871, v70
	v_fmamk_f32 v79, v160, 0xbf737871, v71
	v_sub_f32_e32 v203, v81, v154
	v_sub_f32_e32 v204, v154, v81
	v_add_f32_e32 v155, v104, v163
	v_add_f32_e32 v104, v83, v80
	;; [unrolled: 1-line block ×3, first 2 shown]
	v_fmamk_f32 v80, v161, 0xbf737871, v72
	v_fmac_f32_e32 v72, 0x3f737871, v161
	v_fmamk_f32 v81, v164, 0x3f737871, v73
	v_fmac_f32_e32 v73, 0xbf737871, v164
	v_fmac_f32_e32 v70, 0xbf737871, v158
	;; [unrolled: 1-line block ×3, first 2 shown]
	v_sub_f32_e32 v210, v166, v159
	v_sub_f32_e32 v220, v82, v156
	;; [unrolled: 1-line block ×3, first 2 shown]
	v_add_f32_e32 v107, v84, v162
	v_add_f32_e32 v162, v105, v82
	v_fmamk_f32 v82, v207, 0xbf737871, v145
	v_fmac_f32_e32 v145, 0x3f737871, v207
	v_fmamk_f32 v83, v170, 0x3f737871, v146
	v_fmac_f32_e32 v146, 0xbf737871, v170
	v_sub_f32_e32 v211, v159, v166
	v_fmamk_f32 v84, v167, 0x3f737871, v74
	v_fmamk_f32 v85, v202, 0xbf737871, v75
	v_sub_f32_e32 v227, v173, v201
	v_sub_f32_e32 v228, v201, v173
	v_add_f32_e32 v106, v213, v171
	v_add_f32_e32 v153, v101, v102
	;; [unrolled: 1-line block ×3, first 2 shown]
	v_fmac_f32_e32 v74, 0xbf737871, v167
	v_fmac_f32_e32 v75, 0x3f737871, v202
	v_fmamk_f32 v100, v224, 0xbf737871, v68
	v_fmac_f32_e32 v68, 0x3f737871, v224
	v_fmamk_f32 v102, v169, 0x3f737871, v76
	;; [unrolled: 2-line block ×4, first 2 shown]
	v_fmac_f32_e32 v77, 0x3f737871, v219
	v_fmac_f32_e32 v78, 0x3f167918, v161
	v_fmac_f32_e32 v79, 0xbf167918, v164
	v_fmac_f32_e32 v80, 0x3f167918, v158
	v_fmac_f32_e32 v72, 0xbf167918, v158
	v_fmac_f32_e32 v81, 0xbf167918, v160
	v_fmac_f32_e32 v73, 0x3f167918, v160
	v_fmac_f32_e32 v70, 0xbf167918, v161
	v_fmac_f32_e32 v71, 0x3f167918, v164
	v_add_f32_e32 v163, v168, v203
	v_add_f32_e32 v165, v206, v210
	v_fmac_f32_e32 v82, 0x3f167918, v167
	v_fmac_f32_e32 v145, 0xbf167918, v167
	;; [unrolled: 1-line block ×4, first 2 shown]
	v_add_f32_e32 v168, v172, v204
	v_add_f32_e32 v171, v208, v211
	v_fmac_f32_e32 v84, 0x3f167918, v207
	v_fmac_f32_e32 v85, 0xbf167918, v170
	v_add_f32_e32 v172, v215, v220
	v_add_f32_e32 v174, v223, v227
	;; [unrolled: 1-line block ×7, first 2 shown]
	v_fmac_f32_e32 v74, 0xbf167918, v207
	v_fmac_f32_e32 v75, 0x3f167918, v170
	;; [unrolled: 1-line block ×22, first 2 shown]
	v_add_f32_e32 v106, v143, v154
	v_add_f32_e32 v107, v144, v159
	v_fmac_f32_e32 v84, 0x3e9e377a, v168
	v_fmac_f32_e32 v85, 0x3e9e377a, v171
	v_add_f32_e32 v143, v162, v156
	v_add_f32_e32 v144, v166, v201
	v_fmac_f32_e32 v74, 0x3e9e377a, v168
	v_fmac_f32_e32 v75, 0x3e9e377a, v171
	;; [unrolled: 1-line block ×10, first 2 shown]
	ds_write2_b64 v200, v[104:105], v[78:79] offset1:45
	ds_write2_b64 v200, v[80:81], v[72:73] offset0:90 offset1:135
	ds_write_b64 v200, v[70:71] offset:1440
	ds_write2_b64 v199, v[82:83], v[145:146] offset0:90 offset1:135
	ds_write2_b64 v199, v[106:107], v[84:85] offset1:45
	ds_write_b64 v199, v[74:75] offset:1440
	ds_write2_b64 v198, v[100:101], v[68:69] offset0:90 offset1:135
	ds_write2_b64 v198, v[143:144], v[102:103] offset1:45
	ds_write_b64 v198, v[76:77] offset:1440
	v_add_co_u32 v80, s0, s2, v150
	v_add_co_ci_u32_e64 v81, null, s3, 0, s0
	v_add_co_u32 v84, s0, s2, v151
	v_add_co_ci_u32_e64 v85, null, s3, 0, s0
	s_waitcnt lgkmcnt(0)
	s_barrier
	buffer_gl0_inv
	s_clause 0x4
	global_load_dwordx4 v[68:71], v149, s[2:3] offset:1776
	global_load_dwordx4 v[72:75], v[147:148], off offset:1776
	global_load_dwordx4 v[76:79], v[86:87], off offset:448
	;; [unrolled: 1-line block ×4, first 2 shown]
	v_add_lshl_u32 v202, v88, v90, 3
	v_add_co_u32 v88, s0, s2, v95
	v_add_co_u32 v151, vcc_lo, 0x1000, v96
	v_add_co_ci_u32_e64 v90, null, s3, 0, s0
	v_add_co_u32 v104, s0, s2, v94
	v_add_co_ci_u32_e32 v152, vcc_lo, 0, v97, vcc_lo
	v_add_co_ci_u32_e64 v105, null, s3, 0, s0
	v_add_co_u32 v153, vcc_lo, 0x1000, v88
	v_mad_u16 v88, 0x2a3, v89, v98
	v_lshlrev_b32_e32 v159, 4, v92
	v_add_co_u32 v160, s0, s2, v93
	ds_read2_b64 v[92:95], v182 offset0:70 offset1:205
	v_add_co_ci_u32_e32 v154, vcc_lo, 0, v90, vcc_lo
	v_add_co_u32 v155, vcc_lo, 0x1000, v104
	v_lshlrev_b32_sdwa v203, v91, v99 dst_sel:DWORD dst_unused:UNUSED_PAD src0_sel:DWORD src1_sel:WORD_0
	ds_read2_b64 v[96:99], v181 offset0:42 offset1:177
	ds_read2_b64 v[100:103], v180 offset0:84 offset1:219
	v_add_co_ci_u32_e32 v156, vcc_lo, 0, v105, vcc_lo
	v_lshlrev_b32_sdwa v204, v91, v88 dst_sel:DWORD dst_unused:UNUSED_PAD src0_sel:DWORD src1_sel:WORD_0
	ds_read2_b64 v[88:91], v178 offset0:56 offset1:191
	ds_read2_b64 v[104:107], v183 offset0:28 offset1:163
	ds_read2_b64 v[143:146], v175 offset1:135
	ds_read_b64 v[157:158], v175 offset:15120
	ds_read2_b64 v[147:150], v179 offset0:14 offset1:149
	v_add_nc_u32_e32 v201, 0x1600, v175
	v_add_co_ci_u32_e64 v161, null, s3, 0, s0
	v_add_nc_u32_e32 v205, 0x2a00, v203
	s_waitcnt vmcnt(0) lgkmcnt(0)
	s_barrier
	buffer_gl0_inv
	v_add_nc_u32_e32 v229, 0xc00, v175
	v_add_nc_u32_e32 v230, 0x2400, v175
	v_mul_f32_e32 v162, v93, v71
	v_mul_f32_e32 v163, v92, v71
	;; [unrolled: 1-line block ×20, first 2 shown]
	v_fma_f32 v92, v92, v70, -v162
	v_fmac_f32_e32 v163, v93, v70
	v_fmac_f32_e32 v206, v89, v80
	v_fma_f32 v89, v90, v84, -v207
	v_fmac_f32_e32 v210, v107, v68
	v_fma_f32 v90, v106, v68, -v209
	v_fma_f32 v94, v94, v74, -v164
	v_fmac_f32_e32 v165, v95, v74
	v_fma_f32 v93, v96, v72, -v166
	v_fmac_f32_e32 v167, v97, v72
	;; [unrolled: 2-line block ×6, first 2 shown]
	v_fmac_f32_e32 v211, v158, v86
	v_fma_f32 v100, v157, v86, -v212
	v_add_f32_e32 v91, v144, v210
	v_add_f32_e32 v97, v210, v163
	;; [unrolled: 1-line block ×7, first 2 shown]
	v_sub_f32_e32 v157, v167, v165
	v_add_f32_e32 v158, v145, v93
	v_add_f32_e32 v166, v148, v169
	v_sub_f32_e32 v167, v169, v171
	v_add_f32_e32 v168, v169, v171
	v_add_f32_e32 v169, v147, v95
	v_add_f32_e32 v170, v95, v96
	v_sub_f32_e32 v106, v210, v163
	v_sub_f32_e32 v107, v90, v92
	v_add_f32_e32 v174, v150, v206
	v_sub_f32_e32 v207, v206, v173
	v_add_f32_e32 v206, v206, v173
	v_add_f32_e32 v210, v88, v98
	;; [unrolled: 1-line block ×3, first 2 shown]
	v_sub_f32_e32 v214, v208, v211
	v_add_f32_e32 v208, v208, v211
	v_add_f32_e32 v215, v104, v89
	;; [unrolled: 1-line block ×3, first 2 shown]
	v_sub_f32_e32 v217, v89, v100
	v_add_f32_e32 v89, v91, v163
	v_fma_f32 v90, -0.5, v101, v143
	v_fma_f32 v91, -0.5, v97, v144
	v_sub_f32_e32 v164, v93, v94
	v_fma_f32 v145, -0.5, v162, v145
	v_fmac_f32_e32 v146, -0.5, v103
	v_sub_f32_e32 v172, v95, v96
	v_add_f32_e32 v209, v149, v88
	v_sub_f32_e32 v212, v88, v98
	v_add_f32_e32 v88, v99, v92
	v_add_f32_e32 v92, v158, v94
	;; [unrolled: 1-line block ×3, first 2 shown]
	v_fma_f32 v96, -0.5, v170, v147
	v_fma_f32 v97, -0.5, v168, v148
	v_add_f32_e32 v93, v102, v165
	v_fma_f32 v149, -0.5, v210, v149
	v_fmac_f32_e32 v150, -0.5, v206
	v_fma_f32 v104, -0.5, v216, v104
	v_fmac_f32_e32 v105, -0.5, v208
	v_fmamk_f32 v102, v106, 0x3f5db3d7, v90
	v_fmamk_f32 v103, v107, 0xbf5db3d7, v91
	v_fmac_f32_e32 v90, 0xbf5db3d7, v106
	v_fmac_f32_e32 v91, 0x3f5db3d7, v107
	v_fmamk_f32 v106, v157, 0x3f5db3d7, v145
	v_fmamk_f32 v107, v164, 0xbf5db3d7, v146
	v_fmac_f32_e32 v145, 0xbf5db3d7, v157
	v_fmac_f32_e32 v146, 0x3f5db3d7, v164
	v_add_f32_e32 v95, v166, v171
	v_fmamk_f32 v143, v167, 0x3f5db3d7, v96
	v_fmamk_f32 v144, v172, 0xbf5db3d7, v97
	v_add_f32_e32 v99, v174, v173
	v_add_f32_e32 v98, v209, v98
	;; [unrolled: 1-line block ×4, first 2 shown]
	v_fmac_f32_e32 v96, 0xbf5db3d7, v167
	v_fmac_f32_e32 v97, 0x3f5db3d7, v172
	v_fmamk_f32 v147, v207, 0x3f5db3d7, v149
	v_fmamk_f32 v148, v212, 0xbf5db3d7, v150
	v_fmac_f32_e32 v149, 0xbf5db3d7, v207
	v_fmac_f32_e32 v150, 0x3f5db3d7, v212
	v_fmamk_f32 v157, v214, 0x3f5db3d7, v104
	v_fmac_f32_e32 v104, 0xbf5db3d7, v214
	v_fmamk_f32 v158, v217, 0xbf5db3d7, v105
	v_fmac_f32_e32 v105, 0x3f5db3d7, v217
	ds_write2_b64 v175, v[88:89], v[102:103] offset1:225
	ds_write_b64 v175, v[90:91] offset:3600
	ds_write2_b64 v202, v[92:93], v[106:107] offset1:225
	ds_write_b64 v202, v[145:146] offset:3600
	ds_write2_b64 v201, v[94:95], v[143:144] offset0:16 offset1:241
	ds_write_b64 v175, v[96:97] offset:9360
	ds_write2_b64 v204, v[98:99], v[147:148] offset1:225
	ds_write_b64 v204, v[149:150] offset:3600
	ds_write2_b64 v205, v[100:101], v[157:158] offset0:6 offset1:231
	ds_write_b64 v203, v[104:105] offset:14400
	v_add_co_u32 v94, s0, s2, v159
	v_add_co_ci_u32_e64 v95, null, s3, 0, s0
	v_add_co_u32 v92, vcc_lo, 0x1000, v160
	v_add_co_ci_u32_e32 v93, vcc_lo, 0, v161, vcc_lo
	v_add_co_u32 v96, vcc_lo, 0x1000, v94
	s_waitcnt lgkmcnt(0)
	s_barrier
	buffer_gl0_inv
	global_load_dwordx4 v[104:107], v[151:152], off offset:1280
	v_add_co_ci_u32_e32 v97, vcc_lo, 0, v95, vcc_lo
	s_clause 0x3
	global_load_dwordx4 v[100:103], v[153:154], off offset:1280
	global_load_dwordx4 v[88:91], v[155:156], off offset:1280
	;; [unrolled: 1-line block ×4, first 2 shown]
	ds_read2_b64 v[143:146], v182 offset0:70 offset1:205
	ds_read2_b64 v[147:150], v181 offset0:42 offset1:177
	ds_read2_b64 v[151:154], v183 offset0:28 offset1:163
	ds_read2_b64 v[155:158], v180 offset0:84 offset1:219
	ds_read2_b64 v[159:162], v178 offset0:56 offset1:191
	ds_read2_b64 v[163:166], v175 offset1:135
	ds_read_b64 v[171:172], v175 offset:15120
	ds_read2_b64 v[167:170], v179 offset0:14 offset1:149
	s_load_dwordx2 s[2:3], s[4:5], 0x38
	s_mul_i32 s5, s9, 0x1518
	s_mul_i32 s4, s8, 0x1518
	s_add_i32 s5, s7, s5
	s_sub_i32 s7, s12, s8
	s_mov_b32 s0, 0xc0898b71
	s_mov_b32 s1, 0x3f402e85
	s_waitcnt vmcnt(4) lgkmcnt(0)
	v_mul_f32_e32 v173, v144, v107
	v_mul_f32_e32 v174, v143, v107
	s_waitcnt vmcnt(3)
	v_mul_f32_e32 v207, v145, v103
	v_mul_f32_e32 v212, v154, v105
	;; [unrolled: 1-line block ×6, first 2 shown]
	s_waitcnt vmcnt(2)
	v_mul_f32_e32 v210, v150, v89
	v_mul_f32_e32 v211, v149, v89
	v_mul_f32_e32 v214, v156, v91
	v_mul_f32_e32 v215, v155, v91
	s_waitcnt vmcnt(1)
	v_mul_f32_e32 v216, v158, v95
	v_mul_f32_e32 v217, v157, v95
	v_mul_f32_e32 v218, v160, v93
	v_mul_f32_e32 v219, v159, v93
	;; [unrolled: 5-line block ×3, first 2 shown]
	v_fma_f32 v143, v143, v106, -v173
	v_fmac_f32_e32 v174, v144, v106
	v_fmac_f32_e32 v207, v146, v102
	v_fma_f32 v146, v153, v104, -v212
	v_fmac_f32_e32 v213, v154, v104
	v_fma_f32 v173, v145, v102, -v206
	v_fma_f32 v144, v147, v100, -v208
	v_fmac_f32_e32 v209, v148, v100
	v_fma_f32 v145, v149, v88, -v210
	v_fmac_f32_e32 v211, v150, v88
	;; [unrolled: 2-line block ×7, first 2 shown]
	v_add_f32_e32 v150, v213, v174
	v_add_f32_e32 v156, v146, v143
	;; [unrolled: 1-line block ×4, first 2 shown]
	v_sub_f32_e32 v171, v209, v207
	v_add_f32_e32 v160, v209, v207
	v_add_f32_e32 v172, v144, v173
	;; [unrolled: 1-line block ×4, first 2 shown]
	v_sub_f32_e32 v161, v213, v174
	v_add_f32_e32 v213, v147, v155
	v_add_f32_e32 v216, v219, v217
	;; [unrolled: 1-line block ×5, first 2 shown]
	v_sub_f32_e32 v162, v146, v143
	v_sub_f32_e32 v212, v145, v153
	v_add_f32_e32 v228, v167, v145
	v_fma_f32 v145, -0.5, v156, v163
	v_fma_f32 v146, -0.5, v150, v164
	v_add_f32_e32 v158, v165, v144
	v_sub_f32_e32 v206, v144, v173
	v_sub_f32_e32 v210, v211, v215
	v_add_f32_e32 v144, v149, v174
	v_fma_f32 v165, -0.5, v172, v165
	v_fmac_f32_e32 v166, -0.5, v160
	v_fma_f32 v149, -0.5, v208, v167
	v_fma_f32 v150, -0.5, v209, v168
	v_add_f32_e32 v214, v169, v147
	v_add_f32_e32 v218, v170, v219
	;; [unrolled: 1-line block ×4, first 2 shown]
	v_sub_f32_e32 v219, v219, v217
	v_sub_f32_e32 v226, v147, v155
	;; [unrolled: 1-line block ×4, first 2 shown]
	v_fma_f32 v169, -0.5, v213, v169
	v_fmac_f32_e32 v170, -0.5, v216
	v_fma_f32 v151, -0.5, v220, v151
	v_fmac_f32_e32 v152, -0.5, v224
	v_add_f32_e32 v211, v168, v211
	v_add_f32_e32 v148, v159, v207
	v_fmamk_f32 v159, v161, 0x3f5db3d7, v145
	v_fmamk_f32 v160, v162, 0xbf5db3d7, v146
	v_fmac_f32_e32 v145, 0xbf5db3d7, v161
	v_fmac_f32_e32 v146, 0x3f5db3d7, v162
	v_add_f32_e32 v143, v154, v143
	v_add_f32_e32 v147, v158, v173
	v_fmamk_f32 v161, v171, 0x3f5db3d7, v165
	v_fmac_f32_e32 v165, 0xbf5db3d7, v171
	v_fmamk_f32 v162, v206, 0xbf5db3d7, v166
	v_fmac_f32_e32 v166, 0x3f5db3d7, v206
	;; [unrolled: 2-line block ×8, first 2 shown]
	v_add_f32_e32 v153, v228, v153
	v_add_f32_e32 v154, v211, v215
	;; [unrolled: 1-line block ×6, first 2 shown]
	ds_write_b64 v175, v[159:160] offset:5400
	ds_write_b64 v175, v[145:146] offset:10800
	ds_write2_b64 v175, v[143:144], v[147:148] offset1:135
	ds_write2_b64 v185, v[165:166], v[149:150] offset0:77 offset1:212
	ds_write2_b64 v184, v[169:170], v[151:152] offset0:91 offset1:226
	;; [unrolled: 1-line block ×5, first 2 shown]
	ds_write_b64 v175, v[157:158] offset:4320
	s_waitcnt lgkmcnt(0)
	s_barrier
	buffer_gl0_inv
	global_load_dwordx2 v[206:207], v[108:109], off offset:1864
	v_add_co_u32 v108, vcc_lo, 0x3f48, v110
	v_add_co_ci_u32_e32 v109, vcc_lo, 0, v111, vcc_lo
	v_add_co_u32 v143, vcc_lo, 0x6800, v110
	v_add_co_ci_u32_e32 v144, vcc_lo, 0, v111, vcc_lo
	v_add_co_u32 v145, vcc_lo, 0x7800, v110
	v_add_co_ci_u32_e32 v146, vcc_lo, 0, v111, vcc_lo
	s_clause 0x1
	global_load_dwordx2 v[167:168], v[108:109], off offset:1080
	global_load_dwordx2 v[165:166], v[143:144], off offset:376
	v_add_co_u32 v108, vcc_lo, 0x5800, v110
	global_load_dwordx2 v[169:170], v[145:146], off offset:600
	v_add_co_ci_u32_e32 v109, vcc_lo, 0, v111, vcc_lo
	v_add_co_u32 v145, vcc_lo, 0x4000, v110
	v_add_co_ci_u32_e32 v146, vcc_lo, 0, v111, vcc_lo
	v_add_co_u32 v147, vcc_lo, 0x4800, v110
	;; [unrolled: 2-line block ×3, first 2 shown]
	v_add_co_ci_u32_e32 v150, vcc_lo, 0, v111, vcc_lo
	s_clause 0x3
	global_load_dwordx2 v[163:164], v[143:144], off offset:1456
	global_load_dwordx2 v[161:162], v[108:109], off offset:152
	;; [unrolled: 1-line block ×4, first 2 shown]
	v_add_co_u32 v108, vcc_lo, 0x5000, v110
	v_add_co_ci_u32_e32 v109, vcc_lo, 0, v111, vcc_lo
	v_add_co_u32 v110, vcc_lo, 0x6000, v110
	v_add_co_ci_u32_e32 v111, vcc_lo, 0, v111, vcc_lo
	s_clause 0x6
	global_load_dwordx2 v[159:160], v[147:148], off offset:1008
	global_load_dwordx2 v[155:156], v[149:150], off offset:488
	;; [unrolled: 1-line block ×7, first 2 shown]
	ds_read2_b64 v[108:111], v175 offset1:135
	ds_read_b64 v[171:172], v175 offset:15120
	v_mad_u64_u32 v[224:225], null, s10, v142, 0
	v_add_nc_u32_e32 v226, 0x1400, v175
	v_add_nc_u32_e32 v227, 0x400, v175
	;; [unrolled: 1-line block ×3, first 2 shown]
	s_mul_i32 s10, s9, 0xffffda08
	s_add_i32 s7, s7, s10
	s_waitcnt vmcnt(14) lgkmcnt(1)
	v_mul_f32_e32 v173, v109, v207
	v_mul_f32_e32 v174, v108, v207
	v_fma_f32 v173, v108, v206, -v173
	v_fmac_f32_e32 v174, v109, v206
	ds_write_b64 v175, v[173:174]
	ds_read2_b64 v[206:209], v182 offset0:70 offset1:205
	s_waitcnt vmcnt(13)
	v_mul_f32_e32 v108, v111, v168
	v_mul_f32_e32 v174, v110, v168
	ds_read2_b64 v[210:213], v181 offset0:42 offset1:177
	ds_read2_b64 v[214:217], v179 offset0:14 offset1:149
	s_waitcnt vmcnt(11) lgkmcnt(4)
	v_mul_f32_e32 v109, v172, v170
	v_mul_f32_e32 v223, v171, v170
	ds_read2_b64 v[218:221], v180 offset0:84 offset1:219
	v_fma_f32 v173, v110, v167, -v108
	v_fmac_f32_e32 v174, v111, v167
	v_fma_f32 v222, v171, v169, -v109
	v_fmac_f32_e32 v223, v172, v169
	ds_read2_b64 v[108:111], v183 offset0:28 offset1:163
	ds_read2_b64 v[167:170], v178 offset0:56 offset1:191
	s_waitcnt lgkmcnt(5)
	v_mul_f32_e32 v171, v207, v166
	v_mul_f32_e32 v172, v206, v166
	s_waitcnt vmcnt(10)
	v_mul_f32_e32 v231, v209, v164
	v_mul_f32_e32 v166, v208, v164
	s_waitcnt vmcnt(9) lgkmcnt(4)
	v_mul_f32_e32 v232, v211, v162
	v_mul_f32_e32 v164, v210, v162
	s_waitcnt vmcnt(8)
	v_mul_f32_e32 v233, v213, v158
	v_mul_f32_e32 v162, v212, v158
	s_waitcnt vmcnt(7) lgkmcnt(3)
	;; [unrolled: 6-line block ×3, first 2 shown]
	v_mul_f32_e32 v236, v219, v156
	v_mul_f32_e32 v160, v218, v156
	s_waitcnt vmcnt(4)
	v_mul_f32_e32 v237, v221, v150
	v_fma_f32 v171, v206, v165, -v171
	v_mul_f32_e32 v156, v220, v150
	s_waitcnt vmcnt(3) lgkmcnt(1)
	v_mul_f32_e32 v206, v111, v146
	v_mul_f32_e32 v150, v110, v146
	v_fmac_f32_e32 v172, v207, v165
	v_fma_f32 v165, v208, v163, -v231
	s_waitcnt vmcnt(2)
	v_mul_f32_e32 v207, v109, v152
	v_mul_f32_e32 v146, v108, v152
	s_waitcnt vmcnt(1) lgkmcnt(0)
	v_mul_f32_e32 v208, v168, v148
	v_mul_f32_e32 v152, v167, v148
	v_fmac_f32_e32 v166, v209, v163
	s_waitcnt vmcnt(0)
	v_mul_f32_e32 v209, v170, v144
	v_mul_f32_e32 v148, v169, v144
	v_fma_f32 v163, v210, v161, -v232
	v_fmac_f32_e32 v164, v211, v161
	v_fma_f32 v161, v212, v157, -v233
	v_fmac_f32_e32 v162, v213, v157
	;; [unrolled: 2-line block ×10, first 2 shown]
	ds_write2_b64 v226, v[149:150], v[163:164] offset0:35 offset1:170
	ds_write2_b64 v227, v[173:174], v[157:158] offset0:7 offset1:142
	;; [unrolled: 1-line block ×7, first 2 shown]
	v_mov_b32_e32 v163, v225
	s_waitcnt lgkmcnt(0)
	s_barrier
	buffer_gl0_inv
	ds_read2_b64 v[108:111], v175 offset1:135
	ds_read2_b64 v[143:146], v183 offset0:28 offset1:163
	ds_read2_b64 v[147:150], v182 offset0:70 offset1:205
	;; [unrolled: 1-line block ×5, first 2 shown]
	v_mad_u64_u32 v[169:170], null, s11, v142, v[163:164]
	ds_read_b64 v[170:171], v175 offset:15120
	ds_read2_b64 v[163:166], v178 offset0:56 offset1:191
	v_mad_u64_u32 v[167:168], null, s8, v176, 0
	s_waitcnt lgkmcnt(0)
	s_barrier
	buffer_gl0_inv
	v_add_f32_e32 v142, v108, v145
	v_add_f32_e32 v173, v145, v147
	;; [unrolled: 1-line block ×5, first 2 shown]
	v_sub_f32_e32 v211, v152, v150
	v_add_f32_e32 v152, v152, v150
	v_add_f32_e32 v172, v109, v146
	;; [unrolled: 1-line block ×5, first 2 shown]
	v_sub_f32_e32 v206, v146, v148
	v_sub_f32_e32 v207, v145, v147
	;; [unrolled: 1-line block ×3, first 2 shown]
	v_add_f32_e32 v151, v155, v153
	v_sub_f32_e32 v215, v154, v160
	v_add_f32_e32 v154, v156, v154
	v_add_f32_e32 v217, v158, v164
	;; [unrolled: 1-line block ×3, first 2 shown]
	v_sub_f32_e32 v219, v164, v162
	v_add_f32_e32 v164, v164, v162
	v_add_f32_e32 v221, v165, v170
	;; [unrolled: 1-line block ×3, first 2 shown]
	v_sub_f32_e32 v223, v166, v171
	v_add_f32_e32 v166, v166, v171
	v_fma_f32 v108, -0.5, v173, v108
	v_fma_f32 v109, -0.5, v174, v109
	v_sub_f32_e32 v216, v153, v159
	v_add_f32_e32 v153, v157, v163
	v_fma_f32 v110, -0.5, v210, v110
	v_fmac_f32_e32 v111, -0.5, v152
	v_sub_f32_e32 v220, v163, v161
	v_add_f32_e32 v163, v143, v165
	v_add_f32_e32 v145, v142, v147
	;; [unrolled: 1-line block ×5, first 2 shown]
	v_fma_f32 v149, -0.5, v213, v155
	v_fma_f32 v150, -0.5, v214, v156
	v_sub_f32_e32 v225, v165, v170
	v_add_f32_e32 v151, v151, v159
	v_add_f32_e32 v152, v154, v160
	v_fma_f32 v157, -0.5, v218, v157
	v_fmac_f32_e32 v158, -0.5, v164
	v_fma_f32 v143, -0.5, v221, v143
	v_fmac_f32_e32 v144, -0.5, v166
	v_fmamk_f32 v159, v206, 0xbf5db3d7, v108
	v_fmamk_f32 v160, v207, 0x3f5db3d7, v109
	v_fmac_f32_e32 v108, 0x3f5db3d7, v206
	v_fmac_f32_e32 v109, 0xbf5db3d7, v207
	v_add_f32_e32 v153, v153, v161
	v_add_f32_e32 v154, v217, v162
	v_fmamk_f32 v161, v211, 0xbf5db3d7, v110
	v_fmamk_f32 v162, v212, 0x3f5db3d7, v111
	v_fmac_f32_e32 v110, 0x3f5db3d7, v211
	v_fmac_f32_e32 v111, 0xbf5db3d7, v212
	v_add_f32_e32 v155, v163, v170
	v_fmamk_f32 v163, v215, 0xbf5db3d7, v149
	v_fmamk_f32 v164, v216, 0x3f5db3d7, v150
	v_fmac_f32_e32 v150, 0xbf5db3d7, v216
	v_add_f32_e32 v156, v222, v171
	v_fmac_f32_e32 v149, 0x3f5db3d7, v215
	v_fmamk_f32 v165, v219, 0xbf5db3d7, v157
	v_fmamk_f32 v166, v220, 0x3f5db3d7, v158
	v_fmac_f32_e32 v157, 0x3f5db3d7, v219
	v_fmac_f32_e32 v158, 0xbf5db3d7, v220
	v_fmamk_f32 v170, v223, 0xbf5db3d7, v143
	v_fmac_f32_e32 v143, 0x3f5db3d7, v223
	v_fmamk_f32 v171, v225, 0x3f5db3d7, v144
	v_fmac_f32_e32 v144, 0xbf5db3d7, v225
	ds_write2_b64 v177, v[145:146], v[159:160] offset1:1
	ds_write_b64 v177, v[108:109] offset:16
	ds_write2_b64 v195, v[147:148], v[161:162] offset1:1
	ds_write_b64 v195, v[110:111] offset:16
	;; [unrolled: 2-line block ×5, first 2 shown]
	v_mad_u64_u32 v[150:151], null, s9, v176, v[168:169]
	s_waitcnt lgkmcnt(0)
	s_barrier
	buffer_gl0_inv
	ds_read2_b64 v[146:149], v181 offset0:42 offset1:177
	ds_read2_b64 v[108:111], v178 offset0:56 offset1:191
	;; [unrolled: 1-line block ×3, first 2 shown]
	v_mov_b32_e32 v168, v150
	ds_read2_b64 v[150:153], v182 offset0:70 offset1:205
	ds_read2_b64 v[154:157], v183 offset0:28 offset1:163
	ds_read_b64 v[171:172], v175 offset:15120
	ds_read2_b64 v[158:161], v175 offset1:135
	ds_read2_b64 v[162:165], v179 offset0:14 offset1:149
	v_mov_b32_e32 v225, v169
	s_waitcnt lgkmcnt(0)
	s_barrier
	buffer_gl0_inv
	v_lshlrev_b64 v[169:170], 3, v[224:225]
	v_mul_f32_e32 v196, v23, v151
	v_mul_f32_e32 v23, v23, v150
	;; [unrolled: 1-line block ×20, first 2 shown]
	v_fmac_f32_e32 v196, v22, v150
	v_fma_f32 v21, v20, v157, -v21
	v_fmac_f32_e32 v197, v20, v156
	v_fma_f32 v22, v22, v151, -v23
	;; [unrolled: 2-line block ×10, first 2 shown]
	v_add_f32_e32 v20, v197, v196
	v_add_f32_e32 v30, v21, v22
	;; [unrolled: 1-line block ×5, first 2 shown]
	v_sub_f32_e32 v110, v36, v38
	v_add_f32_e32 v111, v36, v38
	v_add_f32_e32 v36, v162, v177
	;; [unrolled: 1-line block ×4, first 2 shown]
	v_sub_f32_e32 v49, v21, v22
	v_add_f32_e32 v31, v158, v197
	v_sub_f32_e32 v50, v197, v196
	v_add_f32_e32 v146, v33, v48
	v_add_f32_e32 v148, v173, v174
	;; [unrolled: 1-line block ×4, first 2 shown]
	v_fma_f32 v20, -0.5, v20, v158
	v_fma_f32 v21, -0.5, v30, v159
	v_add_f32_e32 v35, v161, v28
	v_sub_f32_e32 v51, v28, v29
	v_add_f32_e32 v28, v160, v194
	v_sub_f32_e32 v108, v194, v195
	v_add_f32_e32 v144, v165, v33
	v_fma_f32 v160, -0.5, v39, v160
	v_fmac_f32_e32 v161, -0.5, v37
	v_sub_f32_e32 v143, v177, v176
	v_add_f32_e32 v30, v36, v176
	v_fma_f32 v36, -0.5, v142, v162
	v_fma_f32 v37, -0.5, v111, v163
	v_sub_f32_e32 v145, v33, v48
	v_add_f32_e32 v147, v164, v173
	v_sub_f32_e32 v149, v173, v174
	v_add_f32_e32 v150, v155, v32
	;; [unrolled: 2-line block ×4, first 2 shown]
	v_add_f32_e32 v22, v31, v196
	v_add_f32_e32 v31, v109, v38
	v_fma_f32 v164, -0.5, v148, v164
	v_fmac_f32_e32 v165, -0.5, v146
	v_fma_f32 v154, -0.5, v156, v154
	v_fmac_f32_e32 v155, -0.5, v152
	v_fmamk_f32 v38, v49, 0xbf5db3d7, v20
	v_fmamk_f32 v39, v50, 0x3f5db3d7, v21
	v_fmac_f32_e32 v20, 0x3f5db3d7, v49
	v_fmac_f32_e32 v21, 0xbf5db3d7, v50
	v_add_f32_e32 v29, v35, v29
	v_add_f32_e32 v28, v28, v195
	;; [unrolled: 1-line block ×3, first 2 shown]
	v_fmamk_f32 v48, v51, 0xbf5db3d7, v160
	v_fmamk_f32 v49, v108, 0x3f5db3d7, v161
	v_fmac_f32_e32 v160, 0x3f5db3d7, v51
	v_fmac_f32_e32 v161, 0xbf5db3d7, v108
	v_fmamk_f32 v50, v110, 0xbf5db3d7, v36
	v_fmamk_f32 v51, v143, 0x3f5db3d7, v37
	v_add_f32_e32 v32, v147, v174
	v_add_f32_e32 v35, v150, v34
	;; [unrolled: 1-line block ×3, first 2 shown]
	v_fmac_f32_e32 v36, 0x3f5db3d7, v110
	v_fmac_f32_e32 v37, 0xbf5db3d7, v143
	v_fmamk_f32 v108, v145, 0xbf5db3d7, v164
	v_fmamk_f32 v109, v149, 0x3f5db3d7, v165
	v_fmac_f32_e32 v164, 0x3f5db3d7, v145
	v_fmac_f32_e32 v165, 0xbf5db3d7, v149
	v_fmamk_f32 v110, v151, 0xbf5db3d7, v154
	v_fmac_f32_e32 v154, 0x3f5db3d7, v151
	v_fmamk_f32 v111, v157, 0x3f5db3d7, v155
	v_fmac_f32_e32 v155, 0xbf5db3d7, v157
	ds_write2_b64 v189, v[22:23], v[38:39] offset1:3
	ds_write_b64 v189, v[20:21] offset:48
	ds_write2_b64 v192, v[28:29], v[48:49] offset1:3
	ds_write_b64 v192, v[160:161] offset:48
	;; [unrolled: 2-line block ×5, first 2 shown]
	v_lshlrev_b64 v[20:21], 3, v[167:168]
	v_add_co_u32 v48, vcc_lo, s2, v169
	v_add_co_ci_u32_e32 v49, vcc_lo, s3, v170, vcc_lo
	s_waitcnt lgkmcnt(0)
	v_add_co_u32 v20, vcc_lo, v48, v20
	s_barrier
	buffer_gl0_inv
	ds_read_b64 v[22:23], v175 offset:15120
	ds_read2_b64 v[28:31], v182 offset0:70 offset1:205
	ds_read2_b64 v[32:35], v180 offset0:84 offset1:219
	;; [unrolled: 1-line block ×3, first 2 shown]
	v_add_co_ci_u32_e32 v21, vcc_lo, v49, v21, vcc_lo
	ds_read2_b64 v[48:51], v183 offset0:28 offset1:163
	ds_read2_b64 v[108:111], v181 offset0:42 offset1:177
	;; [unrolled: 1-line block ×3, first 2 shown]
	ds_read2_b64 v[146:149], v175 offset1:135
	s_waitcnt lgkmcnt(0)
	s_barrier
	buffer_gl0_inv
	v_mul_f32_e32 v152, v61, v29
	v_mul_f32_e32 v61, v61, v28
	;; [unrolled: 1-line block ×24, first 2 shown]
	v_fmac_f32_e32 v152, v60, v28
	v_fma_f32 v60, v60, v29, -v61
	v_fmac_f32_e32 v153, v62, v34
	v_fmac_f32_e32 v154, v54, v32
	v_fma_f32 v54, v54, v33, -v55
	v_fmac_f32_e32 v155, v52, v38
	v_fma_f32 v34, v52, v39, -v53
	v_fmac_f32_e32 v160, v42, v108
	v_fma_f32 v28, v42, v109, -v43
	v_fma_f32 v29, v40, v145, -v41
	v_fmac_f32_e32 v161, v40, v144
	v_fmac_f32_e32 v150, v66, v22
	v_fma_f32 v66, v66, v23, -v67
	v_fma_f32 v61, v62, v35, -v63
	v_fmac_f32_e32 v158, v44, v48
	v_fma_f32 v23, v44, v49, -v45
	v_fmac_f32_e32 v159, v46, v110
	;; [unrolled: 2-line block ×5, first 2 shown]
	v_fma_f32 v22, v56, v51, -v57
	v_add_f32_e32 v33, v160, v155
	v_add_f32_e32 v36, v28, v34
	v_sub_f32_e32 v37, v29, v28
	v_sub_f32_e32 v38, v54, v34
	v_add_f32_e32 v40, v147, v29
	v_add_f32_e32 v39, v146, v161
	v_sub_f32_e32 v48, v29, v54
	v_add_f32_e32 v43, v161, v154
	v_sub_f32_e32 v44, v28, v29
	;; [unrolled: 2-line block ×3, first 2 shown]
	v_sub_f32_e32 v31, v154, v155
	v_add_f32_e32 v46, v159, v152
	v_add_f32_e32 v47, v158, v153
	;; [unrolled: 1-line block ×5, first 2 shown]
	v_sub_f32_e32 v49, v161, v154
	v_sub_f32_e32 v41, v160, v161
	;; [unrolled: 1-line block ×5, first 2 shown]
	v_add_f32_e32 v58, v149, v23
	v_sub_f32_e32 v108, v158, v153
	v_sub_f32_e32 v109, v158, v159
	v_add_f32_e32 v145, v156, v151
	v_add_f32_e32 v158, v157, v150
	;; [unrolled: 1-line block ×6, first 2 shown]
	v_sub_f32_e32 v59, v32, v23
	v_sub_f32_e32 v65, v23, v61
	;; [unrolled: 1-line block ×6, first 2 shown]
	v_fma_f32 v22, -0.5, v33, v146
	v_fma_f32 v23, -0.5, v36, v147
	v_add_f32_e32 v189, v37, v38
	v_add_f32_e32 v37, v40, v28
	v_sub_f32_e32 v50, v28, v34
	v_sub_f32_e32 v51, v160, v155
	v_add_f32_e32 v36, v39, v160
	v_fma_f32 v28, -0.5, v43, v146
	v_fma_f32 v29, -0.5, v29, v147
	v_sub_f32_e32 v63, v32, v60
	v_sub_f32_e32 v67, v159, v152
	;; [unrolled: 1-line block ×3, first 2 shown]
	v_add_f32_e32 v177, v30, v31
	v_fma_f32 v30, -0.5, v46, v148
	v_fma_f32 v148, -0.5, v47, v148
	;; [unrolled: 1-line block ×3, first 2 shown]
	v_fmac_f32_e32 v149, -0.5, v57
	v_add_f32_e32 v38, v52, v159
	v_sub_f32_e32 v144, v61, v60
	v_sub_f32_e32 v162, v156, v157
	;; [unrolled: 1-line block ×6, first 2 shown]
	v_add_f32_e32 v160, v41, v42
	v_add_f32_e32 v146, v44, v45
	;; [unrolled: 1-line block ×3, first 2 shown]
	v_fma_f32 v32, -0.5, v145, v142
	v_fma_f32 v142, -0.5, v158, v142
	;; [unrolled: 1-line block ×3, first 2 shown]
	v_fmac_f32_e32 v143, -0.5, v165
	v_add_f32_e32 v41, v161, v156
	v_add_f32_e32 v44, v166, v35
	;; [unrolled: 1-line block ×3, first 2 shown]
	v_fmamk_f32 v34, v48, 0xbf737871, v22
	v_fmamk_f32 v35, v49, 0x3f737871, v23
	v_add_f32_e32 v46, v36, v155
	v_fmamk_f32 v36, v50, 0x3f737871, v28
	v_fmac_f32_e32 v28, 0xbf737871, v50
	v_fmamk_f32 v37, v51, 0xbf737871, v29
	v_fmac_f32_e32 v29, 0x3f737871, v51
	v_fmac_f32_e32 v22, 0x3f737871, v48
	;; [unrolled: 1-line block ×3, first 2 shown]
	v_sub_f32_e32 v55, v152, v153
	v_sub_f32_e32 v62, v60, v61
	v_add_f32_e32 v52, v109, v111
	v_add_f32_e32 v109, v38, v152
	v_fmamk_f32 v38, v63, 0x3f737871, v148
	v_fmac_f32_e32 v148, 0xbf737871, v63
	v_fmamk_f32 v39, v67, 0xbf737871, v149
	v_fmac_f32_e32 v149, 0x3f737871, v67
	v_sub_f32_e32 v163, v151, v150
	v_sub_f32_e32 v168, v64, v66
	;; [unrolled: 1-line block ×4, first 2 shown]
	v_add_f32_e32 v56, v110, v144
	v_add_f32_e32 v60, v40, v60
	;; [unrolled: 1-line block ×3, first 2 shown]
	v_fmamk_f32 v40, v65, 0xbf737871, v30
	v_fmamk_f32 v41, v108, 0x3f737871, v31
	;; [unrolled: 1-line block ×4, first 2 shown]
	v_add_f32_e32 v64, v44, v64
	v_fmamk_f32 v44, v170, 0xbf737871, v32
	v_fmamk_f32 v45, v157, 0x3f737871, v33
	v_fmac_f32_e32 v32, 0x3f737871, v170
	v_fmac_f32_e32 v33, 0xbf737871, v157
	v_fmac_f32_e32 v30, 0x3f737871, v65
	v_fmac_f32_e32 v31, 0xbf737871, v108
	v_fmac_f32_e32 v142, 0xbf737871, v169
	v_fmac_f32_e32 v143, 0x3f737871, v176
	v_fmac_f32_e32 v34, 0xbf167918, v50
	v_fmac_f32_e32 v35, 0x3f167918, v51
	v_fmac_f32_e32 v36, 0xbf167918, v48
	v_fmac_f32_e32 v28, 0x3f167918, v48
	v_fmac_f32_e32 v37, 0x3f167918, v49
	v_fmac_f32_e32 v29, 0xbf167918, v49
	v_fmac_f32_e32 v22, 0x3f167918, v50
	v_fmac_f32_e32 v23, 0xbf167918, v51
	v_add_f32_e32 v53, v53, v55
	v_add_f32_e32 v55, v59, v62
	v_fmac_f32_e32 v38, 0xbf167918, v65
	v_fmac_f32_e32 v148, 0x3f167918, v65
	;; [unrolled: 1-line block ×4, first 2 shown]
	v_add_f32_e32 v57, v162, v163
	v_add_f32_e32 v58, v167, v168
	;; [unrolled: 1-line block ×4, first 2 shown]
	v_fmac_f32_e32 v40, 0xbf167918, v63
	v_fmac_f32_e32 v41, 0x3f167918, v67
	;; [unrolled: 1-line block ×6, first 2 shown]
	v_add_f32_e32 v46, v46, v154
	v_add_f32_e32 v47, v47, v54
	v_fmac_f32_e32 v30, 0x3f167918, v63
	v_fmac_f32_e32 v31, 0xbf167918, v67
	;; [unrolled: 1-line block ×18, first 2 shown]
	v_add_f32_e32 v48, v109, v153
	v_add_f32_e32 v49, v60, v61
	v_fmac_f32_e32 v40, 0x3e9e377a, v52
	v_fmac_f32_e32 v41, 0x3e9e377a, v56
	;; [unrolled: 1-line block ×6, first 2 shown]
	v_add_f32_e32 v50, v110, v150
	v_add_f32_e32 v51, v64, v66
	v_fmac_f32_e32 v30, 0x3e9e377a, v52
	v_fmac_f32_e32 v31, 0x3e9e377a, v56
	;; [unrolled: 1-line block ×6, first 2 shown]
	ds_write2_b64 v186, v[46:47], v[34:35] offset1:9
	ds_write2_b64 v186, v[36:37], v[28:29] offset0:18 offset1:27
	ds_write_b64 v186, v[22:23] offset:288
	ds_write2_b64 v188, v[38:39], v[148:149] offset0:18 offset1:27
	ds_write2_b64 v188, v[48:49], v[40:41] offset1:9
	ds_write_b64 v188, v[30:31] offset:288
	ds_write2_b64 v187, v[42:43], v[142:143] offset0:18 offset1:27
	ds_write2_b64 v187, v[50:51], v[44:45] offset1:9
	ds_write_b64 v187, v[32:33] offset:288
	s_waitcnt lgkmcnt(0)
	s_barrier
	buffer_gl0_inv
	ds_read_b64 v[60:61], v175 offset:15120
	ds_read2_b64 v[32:35], v182 offset0:70 offset1:205
	ds_read2_b64 v[36:39], v180 offset0:84 offset1:219
	;; [unrolled: 1-line block ×6, first 2 shown]
	ds_read2_b64 v[56:59], v175 offset1:135
	s_waitcnt lgkmcnt(0)
	s_barrier
	buffer_gl0_inv
	v_add_co_u32 v22, vcc_lo, v20, s4
	v_add_co_ci_u32_e32 v23, vcc_lo, s5, v21, vcc_lo
	v_add_co_u32 v28, vcc_lo, v22, s4
	v_add_co_ci_u32_e32 v29, vcc_lo, s5, v23, vcc_lo
	;; [unrolled: 2-line block ×3, first 2 shown]
	v_mul_f32_e32 v63, v25, v35
	v_mul_f32_e32 v25, v25, v34
	;; [unrolled: 1-line block ×24, first 2 shown]
	v_fmac_f32_e32 v63, v24, v34
	v_fma_f32 v24, v24, v35, -v25
	v_fmac_f32_e32 v66, v10, v36
	v_fma_f32 v25, v10, v37, -v11
	;; [unrolled: 2-line block ×3, first 2 shown]
	v_fmac_f32_e32 v142, v2, v48
	v_fmac_f32_e32 v143, v0, v54
	v_fma_f32 v2, v2, v49, -v3
	v_fma_f32 v0, v0, v55, -v1
	v_fmac_f32_e32 v62, v26, v60
	v_fma_f32 v60, v26, v61, -v27
	v_fmac_f32_e32 v64, v16, v32
	;; [unrolled: 2-line block ×7, first 2 shown]
	v_fma_f32 v10, v12, v47, -v13
	v_sub_f32_e32 v1, v143, v142
	v_sub_f32_e32 v3, v66, v67
	v_add_f32_e32 v5, v142, v67
	v_add_f32_e32 v7, v2, v8
	v_sub_f32_e32 v11, v0, v2
	v_sub_f32_e32 v12, v25, v8
	v_add_f32_e32 v14, v57, v0
	v_add_f32_e32 v13, v56, v143
	;; [unrolled: 1-line block ×8, first 2 shown]
	v_sub_f32_e32 v15, v142, v143
	v_sub_f32_e32 v17, v67, v66
	;; [unrolled: 1-line block ×4, first 2 shown]
	v_add_f32_e32 v39, v58, v110
	v_sub_f32_e32 v40, v111, v110
	v_add_f32_e32 v44, v59, v4
	v_sub_f32_e32 v50, v110, v65
	v_sub_f32_e32 v51, v110, v111
	v_add_f32_e32 v110, v108, v63
	v_add_f32_e32 v144, v52, v109
	;; [unrolled: 1-line block ×4, first 2 shown]
	v_sub_f32_e32 v26, v0, v25
	v_sub_f32_e32 v32, v143, v66
	;; [unrolled: 1-line block ×4, first 2 shown]
	v_add_f32_e32 v143, v109, v62
	v_add_f32_e32 v148, v10, v60
	;; [unrolled: 1-line block ×3, first 2 shown]
	v_fma_f32 v0, -0.5, v5, v56
	v_fma_f32 v1, -0.5, v7, v57
	v_add_f32_e32 v159, v11, v12
	v_add_f32_e32 v12, v14, v2
	v_sub_f32_e32 v33, v2, v8
	v_sub_f32_e32 v34, v142, v67
	;; [unrolled: 1-line block ×6, first 2 shown]
	v_add_f32_e32 v11, v13, v142
	v_fma_f32 v2, -0.5, v18, v56
	v_fma_f32 v3, -0.5, v35, v57
	v_sub_f32_e32 v47, v6, v16
	v_sub_f32_e32 v48, v4, v27
	;; [unrolled: 1-line block ×4, first 2 shown]
	v_fma_f32 v4, -0.5, v37, v58
	v_fma_f32 v58, -0.5, v38, v58
	;; [unrolled: 1-line block ×3, first 2 shown]
	v_fmac_f32_e32 v59, -0.5, v43
	v_sub_f32_e32 v55, v65, v64
	v_sub_f32_e32 v61, v27, v16
	;; [unrolled: 1-line block ×3, first 2 shown]
	v_add_f32_e32 v142, v15, v17
	v_add_f32_e32 v35, v19, v36
	;; [unrolled: 1-line block ×4, first 2 shown]
	v_fma_f32 v6, -0.5, v110, v52
	v_fma_f32 v7, -0.5, v147, v53
	v_add_f32_e32 v18, v144, v108
	v_add_f32_e32 v19, v149, v9
	v_sub_f32_e32 v152, v9, v24
	v_sub_f32_e32 v154, v108, v63
	v_add_f32_e32 v37, v45, v46
	v_fma_f32 v52, -0.5, v143, v52
	v_fmac_f32_e32 v53, -0.5, v148
	v_add_f32_e32 v45, v12, v8
	v_fmamk_f32 v8, v26, 0xbf737871, v0
	v_fmamk_f32 v9, v32, 0x3f737871, v1
	v_add_f32_e32 v43, v10, v157
	v_add_f32_e32 v44, v11, v67
	v_fmamk_f32 v10, v33, 0x3f737871, v2
	v_fmac_f32_e32 v2, 0xbf737871, v33
	v_fmamk_f32 v11, v34, 0xbf737871, v3
	v_fmac_f32_e32 v3, 0x3f737871, v34
	v_fmac_f32_e32 v0, 0x3f737871, v26
	;; [unrolled: 1-line block ×3, first 2 shown]
	v_sub_f32_e32 v41, v64, v65
	v_fmamk_f32 v12, v47, 0x3f737871, v58
	v_fmac_f32_e32 v58, 0xbf737871, v47
	v_fmamk_f32 v13, v49, 0xbf737871, v59
	v_fmac_f32_e32 v59, 0x3f737871, v49
	v_sub_f32_e32 v145, v108, v109
	v_sub_f32_e32 v109, v109, v108
	;; [unrolled: 1-line block ×3, first 2 shown]
	v_add_f32_e32 v38, v51, v55
	v_add_f32_e32 v39, v54, v61
	v_add_f32_e32 v46, v14, v64
	v_add_f32_e32 v51, v15, v16
	v_fmamk_f32 v14, v48, 0xbf737871, v4
	v_fmamk_f32 v15, v50, 0x3f737871, v5
	v_add_f32_e32 v54, v18, v63
	v_add_f32_e32 v55, v19, v24
	v_fmamk_f32 v18, v153, 0xbf737871, v6
	v_fmamk_f32 v19, v155, 0x3f737871, v7
	v_fmac_f32_e32 v6, 0x3f737871, v153
	v_fmac_f32_e32 v7, 0xbf737871, v155
	v_sub_f32_e32 v146, v63, v62
	v_sub_f32_e32 v151, v24, v60
	v_fmac_f32_e32 v4, 0x3f737871, v48
	v_fmac_f32_e32 v5, 0xbf737871, v50
	v_fmamk_f32 v16, v152, 0x3f737871, v52
	v_fmac_f32_e32 v52, 0xbf737871, v152
	v_fmamk_f32 v17, v154, 0xbf737871, v53
	v_fmac_f32_e32 v53, 0x3f737871, v154
	v_fmac_f32_e32 v8, 0xbf167918, v33
	;; [unrolled: 1-line block ×9, first 2 shown]
	v_add_f32_e32 v36, v40, v41
	v_fmac_f32_e32 v12, 0xbf167918, v48
	v_fmac_f32_e32 v58, 0x3f167918, v48
	;; [unrolled: 1-line block ×4, first 2 shown]
	v_add_f32_e32 v42, v109, v156
	v_fmac_f32_e32 v14, 0xbf167918, v47
	v_fmac_f32_e32 v15, 0x3f167918, v49
	;; [unrolled: 1-line block ×6, first 2 shown]
	v_add_f32_e32 v40, v145, v146
	v_add_f32_e32 v41, v150, v151
	;; [unrolled: 1-line block ×4, first 2 shown]
	v_fmac_f32_e32 v4, 0x3f167918, v47
	v_fmac_f32_e32 v5, 0xbf167918, v49
	;; [unrolled: 1-line block ×18, first 2 shown]
	v_add_f32_e32 v26, v46, v65
	v_add_f32_e32 v27, v51, v27
	v_fmac_f32_e32 v14, 0x3e9e377a, v38
	v_fmac_f32_e32 v15, 0x3e9e377a, v39
	;; [unrolled: 1-line block ×6, first 2 shown]
	v_add_f32_e32 v32, v54, v62
	v_add_f32_e32 v33, v55, v60
	v_fmac_f32_e32 v4, 0x3e9e377a, v38
	v_fmac_f32_e32 v5, 0x3e9e377a, v39
	;; [unrolled: 1-line block ×6, first 2 shown]
	ds_write2_b64 v200, v[24:25], v[8:9] offset1:45
	ds_write2_b64 v200, v[10:11], v[2:3] offset0:90 offset1:135
	ds_write_b64 v200, v[0:1] offset:1440
	ds_write2_b64 v199, v[12:13], v[58:59] offset0:90 offset1:135
	ds_write2_b64 v199, v[26:27], v[14:15] offset1:45
	ds_write_b64 v199, v[4:5] offset:1440
	ds_write2_b64 v198, v[16:17], v[52:53] offset0:90 offset1:135
	ds_write2_b64 v198, v[32:33], v[18:19] offset1:45
	ds_write_b64 v198, v[6:7] offset:1440
	s_waitcnt lgkmcnt(0)
	s_barrier
	buffer_gl0_inv
	ds_read_b64 v[18:19], v175 offset:15120
	ds_read2_b64 v[6:9], v178 offset0:56 offset1:191
	ds_read2_b64 v[10:13], v180 offset0:84 offset1:219
	ds_read2_b64 v[14:17], v181 offset0:42 offset1:177
	ds_read2_b64 v[24:27], v182 offset0:70 offset1:205
	ds_read2_b64 v[32:35], v183 offset0:28 offset1:163
	ds_read2_b64 v[36:39], v175 offset1:135
	ds_read2_b64 v[40:43], v179 offset0:14 offset1:149
	s_waitcnt lgkmcnt(0)
	s_barrier
	buffer_gl0_inv
	v_add_co_u32 v0, vcc_lo, v30, s4
	v_add_co_ci_u32_e32 v1, vcc_lo, s5, v31, vcc_lo
	v_add_co_u32 v2, vcc_lo, v0, s4
	v_add_co_ci_u32_e32 v3, vcc_lo, s5, v1, vcc_lo
	v_add_co_u32 v4, vcc_lo, v2, s6
	v_add_co_ci_u32_e32 v5, vcc_lo, s7, v3, vcc_lo
	v_mul_f32_e32 v50, v83, v13
	v_mul_f32_e32 v52, v79, v11
	;; [unrolled: 1-line block ×20, first 2 shown]
	v_fmac_f32_e32 v50, v82, v12
	v_fmac_f32_e32 v52, v78, v10
	v_fma_f32 v12, v78, v11, -v53
	v_fma_f32 v10, v68, v35, -v63
	;; [unrolled: 1-line block ×3, first 2 shown]
	v_fmac_f32_e32 v62, v68, v34
	v_fmac_f32_e32 v60, v70, v24
	;; [unrolled: 1-line block ×4, first 2 shown]
	v_fma_f32 v8, v84, v9, -v47
	v_fma_f32 v18, v82, v13, -v51
	v_fmac_f32_e32 v56, v72, v14
	v_fma_f32 v9, v72, v15, -v57
	v_fmac_f32_e32 v58, v74, v26
	;; [unrolled: 2-line block ×4, first 2 shown]
	v_fma_f32 v7, v76, v17, -v55
	v_fma_f32 v19, v86, v19, -v45
	v_add_f32_e32 v14, v37, v10
	v_sub_f32_e32 v26, v10, v11
	v_add_f32_e32 v10, v10, v11
	v_add_f32_e32 v16, v62, v60
	;; [unrolled: 1-line block ×8, first 2 shown]
	v_sub_f32_e32 v27, v62, v60
	v_sub_f32_e32 v34, v9, v13
	v_add_f32_e32 v25, v38, v56
	v_add_f32_e32 v61, v6, v18
	v_add_f32_e32 v62, v48, v50
	v_add_f32_e32 v63, v46, v44
	v_add_f32_e32 v65, v33, v8
	v_add_f32_e32 v66, v8, v19
	v_sub_f32_e32 v67, v8, v19
	v_fma_f32 v8, -0.5, v16, v36
	v_fma_f32 v9, -0.5, v10, v37
	v_sub_f32_e32 v45, v56, v58
	v_fma_f32 v38, -0.5, v35, v38
	v_fmac_f32_e32 v39, -0.5, v24
	v_add_f32_e32 v47, v40, v54
	v_add_f32_e32 v49, v41, v7
	v_sub_f32_e32 v53, v7, v12
	v_add_f32_e32 v56, v43, v6
	v_add_f32_e32 v57, v42, v48
	v_sub_f32_e32 v54, v54, v52
	v_add_f32_e32 v64, v32, v46
	v_add_f32_e32 v7, v14, v11
	;; [unrolled: 1-line block ×3, first 2 shown]
	v_fma_f32 v16, -0.5, v51, v40
	v_fma_f32 v17, -0.5, v55, v41
	v_sub_f32_e32 v59, v6, v18
	v_sub_f32_e32 v48, v48, v50
	;; [unrolled: 1-line block ×3, first 2 shown]
	v_add_f32_e32 v6, v15, v60
	v_add_f32_e32 v10, v25, v58
	v_fma_f32 v42, -0.5, v62, v42
	v_fmac_f32_e32 v43, -0.5, v61
	v_fma_f32 v32, -0.5, v63, v32
	v_fmac_f32_e32 v33, -0.5, v66
	v_fmamk_f32 v24, v26, 0xbf5db3d7, v8
	v_fmamk_f32 v25, v27, 0x3f5db3d7, v9
	v_fmac_f32_e32 v8, 0x3f5db3d7, v26
	v_fmac_f32_e32 v9, 0xbf5db3d7, v27
	v_fmamk_f32 v26, v34, 0xbf5db3d7, v38
	v_fmamk_f32 v27, v45, 0x3f5db3d7, v39
	v_fmac_f32_e32 v38, 0x3f5db3d7, v34
	v_fmac_f32_e32 v39, 0xbf5db3d7, v45
	v_add_f32_e32 v13, v49, v12
	v_add_f32_e32 v12, v47, v52
	;; [unrolled: 1-line block ×6, first 2 shown]
	v_fmamk_f32 v34, v53, 0xbf5db3d7, v16
	v_fmac_f32_e32 v16, 0x3f5db3d7, v53
	v_fmamk_f32 v35, v54, 0x3f5db3d7, v17
	v_fmac_f32_e32 v17, 0xbf5db3d7, v54
	;; [unrolled: 2-line block ×6, first 2 shown]
	ds_write2_b64 v175, v[6:7], v[24:25] offset1:225
	ds_write_b64 v175, v[8:9] offset:3600
	ds_write2_b64 v202, v[10:11], v[26:27] offset1:225
	ds_write_b64 v202, v[38:39] offset:3600
	ds_write2_b64 v201, v[12:13], v[34:35] offset0:16 offset1:241
	ds_write_b64 v175, v[16:17] offset:9360
	ds_write2_b64 v204, v[14:15], v[36:37] offset1:225
	ds_write_b64 v204, v[42:43] offset:3600
	ds_write2_b64 v205, v[18:19], v[40:41] offset0:6 offset1:231
	ds_write_b64 v203, v[32:33] offset:14400
	s_waitcnt lgkmcnt(0)
	s_barrier
	buffer_gl0_inv
	ds_read2_b64 v[12:15], v183 offset0:28 offset1:163
	ds_read2_b64 v[16:19], v182 offset0:70 offset1:205
	;; [unrolled: 1-line block ×5, first 2 shown]
	ds_read_b64 v[48:49], v175 offset:15120
	ds_read2_b64 v[40:43], v175 offset1:135
	ds_read2_b64 v[44:47], v179 offset0:14 offset1:149
	v_add_co_u32 v6, vcc_lo, v4, s4
	v_add_co_ci_u32_e32 v7, vcc_lo, s5, v5, vcc_lo
	v_add_co_u32 v8, vcc_lo, v6, s4
	v_add_co_ci_u32_e32 v9, vcc_lo, s5, v7, vcc_lo
	;; [unrolled: 2-line block ×3, first 2 shown]
	s_waitcnt lgkmcnt(7)
	v_mul_f32_e32 v50, v105, v15
	v_mul_f32_e32 v51, v105, v14
	s_waitcnt lgkmcnt(6)
	v_mul_f32_e32 v52, v107, v17
	v_mul_f32_e32 v53, v107, v16
	v_mul_f32_e32 v54, v103, v19
	v_mul_f32_e32 v55, v103, v18
	s_waitcnt lgkmcnt(5)
	v_mul_f32_e32 v56, v101, v25
	v_mul_f32_e32 v57, v101, v24
	;; [unrolled: 5-line block ×3, first 2 shown]
	v_mul_f32_e32 v63, v95, v34
	s_waitcnt lgkmcnt(3)
	v_mul_f32_e32 v66, v97, v39
	v_mul_f32_e32 v67, v97, v38
	s_waitcnt lgkmcnt(2)
	v_mul_f32_e32 v68, v99, v49
	v_mul_f32_e32 v69, v99, v48
	;; [unrolled: 1-line block ×5, first 2 shown]
	v_fmac_f32_e32 v50, v104, v14
	v_fma_f32 v14, v104, v15, -v51
	v_fmac_f32_e32 v52, v106, v16
	v_fma_f32 v15, v106, v17, -v53
	;; [unrolled: 2-line block ×6, first 2 shown]
	v_fma_f32 v27, v94, v35, -v63
	v_fmac_f32_e32 v66, v96, v38
	v_fma_f32 v25, v96, v39, -v67
	v_fmac_f32_e32 v68, v98, v48
	;; [unrolled: 2-line block ×3, first 2 shown]
	v_fmac_f32_e32 v64, v92, v36
	v_fma_f32 v24, v92, v37, -v65
	v_add_f32_e32 v32, v50, v52
	v_add_f32_e32 v34, v14, v15
	s_waitcnt lgkmcnt(1)
	v_add_f32_e32 v26, v40, v50
	v_add_f32_e32 v33, v41, v14
	v_sub_f32_e32 v38, v50, v52
	v_add_f32_e32 v39, v56, v54
	v_add_f32_e32 v50, v16, v17
	;; [unrolled: 1-line block ×6, first 2 shown]
	v_sub_f32_e32 v37, v14, v15
	v_add_f32_e32 v36, v42, v56
	v_add_f32_e32 v63, v64, v62
	s_waitcnt lgkmcnt(0)
	v_add_f32_e32 v65, v47, v24
	v_sub_f32_e32 v67, v24, v27
	v_add_f32_e32 v69, v24, v27
	v_add_f32_e32 v72, v13, v25
	v_sub_f32_e32 v74, v25, v35
	v_fma_f32 v24, -0.5, v32, v40
	v_fma_f32 v25, -0.5, v34, v41
	v_add_f32_e32 v49, v43, v16
	v_sub_f32_e32 v48, v16, v17
	v_sub_f32_e32 v51, v56, v54
	v_add_f32_e32 v53, v44, v58
	v_sub_f32_e32 v56, v18, v19
	v_sub_f32_e32 v58, v58, v60
	v_add_f32_e32 v15, v33, v15
	v_fma_f32 v42, -0.5, v39, v42
	v_fmac_f32_e32 v43, -0.5, v50
	v_fma_f32 v32, -0.5, v55, v44
	v_fma_f32 v33, -0.5, v59, v45
	v_add_f32_e32 v57, v45, v18
	v_add_f32_e32 v71, v12, v66
	v_sub_f32_e32 v66, v66, v68
	v_fma_f32 v12, -0.5, v70, v12
	v_fmac_f32_e32 v13, -0.5, v73
	v_add_f32_e32 v61, v46, v64
	v_sub_f32_e32 v64, v64, v62
	v_add_f32_e32 v16, v36, v54
	v_fma_f32 v46, -0.5, v63, v46
	v_fmac_f32_e32 v47, -0.5, v69
	v_fmamk_f32 v36, v37, 0xbf5db3d7, v24
	v_fmac_f32_e32 v24, 0x3f5db3d7, v37
	v_fmamk_f32 v37, v38, 0x3f5db3d7, v25
	v_fmac_f32_e32 v25, 0xbf5db3d7, v38
	v_add_f32_e32 v14, v26, v52
	v_add_f32_e32 v17, v49, v17
	v_fmamk_f32 v38, v48, 0xbf5db3d7, v42
	v_fmamk_f32 v39, v51, 0x3f5db3d7, v43
	;; [unrolled: 1-line block ×4, first 2 shown]
	v_add_f32_e32 v18, v53, v60
	v_add_f32_e32 v19, v57, v19
	v_fmac_f32_e32 v42, 0x3f5db3d7, v48
	v_fmac_f32_e32 v43, 0xbf5db3d7, v51
	;; [unrolled: 1-line block ×4, first 2 shown]
	v_fmamk_f32 v48, v74, 0xbf5db3d7, v12
	v_fmac_f32_e32 v12, 0x3f5db3d7, v74
	v_fmamk_f32 v49, v66, 0x3f5db3d7, v13
	v_fmac_f32_e32 v13, 0xbf5db3d7, v66
	v_add_f32_e32 v26, v61, v62
	v_add_f32_e32 v27, v65, v27
	;; [unrolled: 1-line block ×4, first 2 shown]
	v_fmamk_f32 v44, v67, 0xbf5db3d7, v46
	v_fmac_f32_e32 v46, 0x3f5db3d7, v67
	v_fmamk_f32 v45, v64, 0x3f5db3d7, v47
	v_fmac_f32_e32 v47, 0xbf5db3d7, v64
	ds_write_b64 v175, v[36:37] offset:5400
	ds_write_b64 v175, v[24:25] offset:10800
	ds_write2_b64 v175, v[14:15], v[16:17] offset1:135
	ds_write2_b64 v181, v[38:39], v[40:41] offset0:42 offset1:177
	ds_write2_b64 v185, v[42:43], v[32:33] offset0:77 offset1:212
	;; [unrolled: 1-line block ×3, first 2 shown]
	ds_write_b64 v175, v[34:35] offset:4320
	ds_write2_b64 v178, v[44:45], v[48:49] offset0:56 offset1:191
	ds_write2_b64 v184, v[46:47], v[12:13] offset0:91 offset1:226
	s_waitcnt lgkmcnt(0)
	s_barrier
	buffer_gl0_inv
	ds_read2_b64 v[12:15], v175 offset1:135
	ds_read2_b64 v[16:19], v183 offset0:28 offset1:163
	ds_read2_b64 v[24:27], v182 offset0:70 offset1:205
	;; [unrolled: 1-line block ×6, first 2 shown]
	ds_read_b64 v[54:55], v175 offset:15120
	v_add_co_u32 v48, vcc_lo, v10, s4
	v_add_co_ci_u32_e32 v49, vcc_lo, s5, v11, vcc_lo
	v_add_co_u32 v50, vcc_lo, v48, s4
	v_add_co_ci_u32_e32 v51, vcc_lo, s5, v49, vcc_lo
	;; [unrolled: 2-line block ×3, first 2 shown]
	s_waitcnt lgkmcnt(7)
	v_mul_f32_e32 v56, v115, v13
	v_mul_f32_e32 v57, v115, v12
	s_waitcnt lgkmcnt(6)
	v_mul_f32_e32 v58, v117, v19
	v_mul_f32_e32 v59, v117, v18
	;; [unrolled: 3-line block ×3, first 2 shown]
	v_mul_f32_e32 v60, v113, v15
	v_mul_f32_e32 v61, v113, v14
	s_waitcnt lgkmcnt(4)
	v_mul_f32_e32 v64, v129, v33
	v_mul_f32_e32 v65, v129, v32
	;; [unrolled: 1-line block ×4, first 2 shown]
	v_fmac_f32_e32 v56, v114, v12
	v_fma_f32 v57, v114, v13, -v57
	s_waitcnt lgkmcnt(3)
	v_mul_f32_e32 v68, v125, v37
	v_mul_f32_e32 v69, v125, v36
	s_waitcnt lgkmcnt(2)
	v_mul_f32_e32 v73, v135, v40
	v_mul_f32_e32 v75, v119, v38
	;; [unrolled: 3-line block ×3, first 2 shown]
	v_mul_f32_e32 v80, v137, v17
	v_mul_f32_e32 v81, v137, v16
	v_fmac_f32_e32 v58, v116, v18
	v_fma_f32 v18, v116, v19, -v59
	v_mul_f32_e32 v70, v127, v35
	v_mul_f32_e32 v71, v127, v34
	v_fmac_f32_e32 v62, v122, v24
	v_fma_f32 v63, v122, v25, -v63
	v_mul_f32_e32 v72, v135, v41
	v_fmac_f32_e32 v60, v112, v14
	v_fma_f32 v61, v112, v15, -v61
	;; [unrolled: 3-line block ×3, first 2 shown]
	v_mul_f32_e32 v76, v131, v45
	v_mul_f32_e32 v78, v133, v43
	v_fmac_f32_e32 v66, v120, v26
	v_fma_f32 v67, v120, v27, -v67
	v_cvt_f64_f32_e32 v[12:13], v56
	v_cvt_f64_f32_e32 v[14:15], v57
	v_mul_f32_e32 v82, v139, v47
	v_mul_f32_e32 v83, v139, v46
	v_fmac_f32_e32 v68, v124, v36
	v_fma_f32 v59, v124, v37, -v69
	v_fma_f32 v69, v134, v41, -v73
	;; [unrolled: 1-line block ×5, first 2 shown]
	v_fmac_f32_e32 v80, v136, v16
	v_fma_f32 v79, v136, v17, -v81
	v_cvt_f64_f32_e32 v[16:17], v58
	v_cvt_f64_f32_e32 v[18:19], v18
	s_waitcnt lgkmcnt(0)
	v_mul_f32_e32 v84, v141, v55
	v_mul_f32_e32 v85, v141, v54
	v_fmac_f32_e32 v70, v126, v34
	v_fma_f32 v71, v126, v35, -v71
	v_cvt_f64_f32_e32 v[24:25], v62
	v_cvt_f64_f32_e32 v[26:27], v63
	v_fmac_f32_e32 v72, v134, v40
	v_cvt_f64_f32_e32 v[32:33], v60
	v_cvt_f64_f32_e32 v[34:35], v61
	v_fmac_f32_e32 v74, v118, v38
	;; [unrolled: 3-line block ×3, first 2 shown]
	v_fmac_f32_e32 v78, v132, v42
	v_cvt_f64_f32_e32 v[40:41], v66
	v_cvt_f64_f32_e32 v[42:43], v67
	v_fmac_f32_e32 v82, v138, v46
	v_fma_f32 v81, v138, v47, -v83
	v_cvt_f64_f32_e32 v[44:45], v68
	v_cvt_f64_f32_e32 v[46:47], v59
	v_fmac_f32_e32 v84, v140, v54
	v_fma_f32 v85, v140, v55, -v85
	v_cvt_f64_f32_e32 v[54:55], v70
	v_cvt_f64_f32_e32 v[56:57], v71
	;; [unrolled: 1-line block ×16, first 2 shown]
	v_mul_f64 v[12:13], v[12:13], s[0:1]
	v_mul_f64 v[14:15], v[14:15], s[0:1]
	;; [unrolled: 1-line block ×30, first 2 shown]
	v_cvt_f32_f64_e32 v12, v[12:13]
	v_cvt_f32_f64_e32 v13, v[14:15]
	;; [unrolled: 1-line block ×30, first 2 shown]
	v_add_co_u32 v56, vcc_lo, v52, s4
	v_add_co_ci_u32_e32 v57, vcc_lo, s5, v53, vcc_lo
	v_add_co_u32 v58, vcc_lo, v56, s4
	v_add_co_ci_u32_e32 v59, vcc_lo, s5, v57, vcc_lo
	global_store_dwordx2 v[20:21], v[12:13], off
	global_store_dwordx2 v[22:23], v[14:15], off
	;; [unrolled: 1-line block ×15, first 2 shown]
.LBB0_2:
	s_endpgm
	.section	.rodata,"a",@progbits
	.p2align	6, 0x0
	.amdhsa_kernel bluestein_single_back_len2025_dim1_sp_op_CI_CI
		.amdhsa_group_segment_fixed_size 16200
		.amdhsa_private_segment_fixed_size 0
		.amdhsa_kernarg_size 104
		.amdhsa_user_sgpr_count 6
		.amdhsa_user_sgpr_private_segment_buffer 1
		.amdhsa_user_sgpr_dispatch_ptr 0
		.amdhsa_user_sgpr_queue_ptr 0
		.amdhsa_user_sgpr_kernarg_segment_ptr 1
		.amdhsa_user_sgpr_dispatch_id 0
		.amdhsa_user_sgpr_flat_scratch_init 0
		.amdhsa_user_sgpr_private_segment_size 0
		.amdhsa_wavefront_size32 1
		.amdhsa_uses_dynamic_stack 0
		.amdhsa_system_sgpr_private_segment_wavefront_offset 0
		.amdhsa_system_sgpr_workgroup_id_x 1
		.amdhsa_system_sgpr_workgroup_id_y 0
		.amdhsa_system_sgpr_workgroup_id_z 0
		.amdhsa_system_sgpr_workgroup_info 0
		.amdhsa_system_vgpr_workitem_id 0
		.amdhsa_next_free_vgpr 238
		.amdhsa_next_free_sgpr 20
		.amdhsa_reserve_vcc 1
		.amdhsa_reserve_flat_scratch 0
		.amdhsa_float_round_mode_32 0
		.amdhsa_float_round_mode_16_64 0
		.amdhsa_float_denorm_mode_32 3
		.amdhsa_float_denorm_mode_16_64 3
		.amdhsa_dx10_clamp 1
		.amdhsa_ieee_mode 1
		.amdhsa_fp16_overflow 0
		.amdhsa_workgroup_processor_mode 1
		.amdhsa_memory_ordered 1
		.amdhsa_forward_progress 0
		.amdhsa_shared_vgpr_count 0
		.amdhsa_exception_fp_ieee_invalid_op 0
		.amdhsa_exception_fp_denorm_src 0
		.amdhsa_exception_fp_ieee_div_zero 0
		.amdhsa_exception_fp_ieee_overflow 0
		.amdhsa_exception_fp_ieee_underflow 0
		.amdhsa_exception_fp_ieee_inexact 0
		.amdhsa_exception_int_div_zero 0
	.end_amdhsa_kernel
	.text
.Lfunc_end0:
	.size	bluestein_single_back_len2025_dim1_sp_op_CI_CI, .Lfunc_end0-bluestein_single_back_len2025_dim1_sp_op_CI_CI
                                        ; -- End function
	.section	.AMDGPU.csdata,"",@progbits
; Kernel info:
; codeLenInByte = 16488
; NumSgprs: 22
; NumVgprs: 238
; ScratchSize: 0
; MemoryBound: 0
; FloatMode: 240
; IeeeMode: 1
; LDSByteSize: 16200 bytes/workgroup (compile time only)
; SGPRBlocks: 2
; VGPRBlocks: 29
; NumSGPRsForWavesPerEU: 22
; NumVGPRsForWavesPerEU: 238
; Occupancy: 4
; WaveLimiterHint : 1
; COMPUTE_PGM_RSRC2:SCRATCH_EN: 0
; COMPUTE_PGM_RSRC2:USER_SGPR: 6
; COMPUTE_PGM_RSRC2:TRAP_HANDLER: 0
; COMPUTE_PGM_RSRC2:TGID_X_EN: 1
; COMPUTE_PGM_RSRC2:TGID_Y_EN: 0
; COMPUTE_PGM_RSRC2:TGID_Z_EN: 0
; COMPUTE_PGM_RSRC2:TIDIG_COMP_CNT: 0
	.text
	.p2alignl 6, 3214868480
	.fill 48, 4, 3214868480
	.type	__hip_cuid_ba693191f6ce399b,@object ; @__hip_cuid_ba693191f6ce399b
	.section	.bss,"aw",@nobits
	.globl	__hip_cuid_ba693191f6ce399b
__hip_cuid_ba693191f6ce399b:
	.byte	0                               ; 0x0
	.size	__hip_cuid_ba693191f6ce399b, 1

	.ident	"AMD clang version 19.0.0git (https://github.com/RadeonOpenCompute/llvm-project roc-6.4.0 25133 c7fe45cf4b819c5991fe208aaa96edf142730f1d)"
	.section	".note.GNU-stack","",@progbits
	.addrsig
	.addrsig_sym __hip_cuid_ba693191f6ce399b
	.amdgpu_metadata
---
amdhsa.kernels:
  - .args:
      - .actual_access:  read_only
        .address_space:  global
        .offset:         0
        .size:           8
        .value_kind:     global_buffer
      - .actual_access:  read_only
        .address_space:  global
        .offset:         8
        .size:           8
        .value_kind:     global_buffer
      - .actual_access:  read_only
        .address_space:  global
        .offset:         16
        .size:           8
        .value_kind:     global_buffer
      - .actual_access:  read_only
        .address_space:  global
        .offset:         24
        .size:           8
        .value_kind:     global_buffer
      - .actual_access:  read_only
        .address_space:  global
        .offset:         32
        .size:           8
        .value_kind:     global_buffer
      - .offset:         40
        .size:           8
        .value_kind:     by_value
      - .address_space:  global
        .offset:         48
        .size:           8
        .value_kind:     global_buffer
      - .address_space:  global
        .offset:         56
        .size:           8
        .value_kind:     global_buffer
      - .address_space:  global
        .offset:         64
        .size:           8
        .value_kind:     global_buffer
      - .address_space:  global
        .offset:         72
        .size:           8
        .value_kind:     global_buffer
      - .offset:         80
        .size:           4
        .value_kind:     by_value
      - .address_space:  global
        .offset:         88
        .size:           8
        .value_kind:     global_buffer
      - .address_space:  global
        .offset:         96
        .size:           8
        .value_kind:     global_buffer
    .group_segment_fixed_size: 16200
    .kernarg_segment_align: 8
    .kernarg_segment_size: 104
    .language:       OpenCL C
    .language_version:
      - 2
      - 0
    .max_flat_workgroup_size: 135
    .name:           bluestein_single_back_len2025_dim1_sp_op_CI_CI
    .private_segment_fixed_size: 0
    .sgpr_count:     22
    .sgpr_spill_count: 0
    .symbol:         bluestein_single_back_len2025_dim1_sp_op_CI_CI.kd
    .uniform_work_group_size: 1
    .uses_dynamic_stack: false
    .vgpr_count:     238
    .vgpr_spill_count: 0
    .wavefront_size: 32
    .workgroup_processor_mode: 1
amdhsa.target:   amdgcn-amd-amdhsa--gfx1030
amdhsa.version:
  - 1
  - 2
...

	.end_amdgpu_metadata
